;; amdgpu-corpus repo=ROCm/rocFFT kind=compiled arch=gfx906 opt=O3
	.text
	.amdgcn_target "amdgcn-amd-amdhsa--gfx906"
	.amdhsa_code_object_version 6
	.protected	fft_rtc_fwd_len1683_factors_17_3_11_3_wgs_51_tpt_51_halfLds_sp_ip_CI_sbrr_dirReg ; -- Begin function fft_rtc_fwd_len1683_factors_17_3_11_3_wgs_51_tpt_51_halfLds_sp_ip_CI_sbrr_dirReg
	.globl	fft_rtc_fwd_len1683_factors_17_3_11_3_wgs_51_tpt_51_halfLds_sp_ip_CI_sbrr_dirReg
	.p2align	8
	.type	fft_rtc_fwd_len1683_factors_17_3_11_3_wgs_51_tpt_51_halfLds_sp_ip_CI_sbrr_dirReg,@function
fft_rtc_fwd_len1683_factors_17_3_11_3_wgs_51_tpt_51_halfLds_sp_ip_CI_sbrr_dirReg: ; @fft_rtc_fwd_len1683_factors_17_3_11_3_wgs_51_tpt_51_halfLds_sp_ip_CI_sbrr_dirReg
; %bb.0:
	s_load_dwordx2 s[14:15], s[4:5], 0x18
	s_load_dwordx4 s[8:11], s[4:5], 0x0
	s_load_dwordx2 s[12:13], s[4:5], 0x50
	v_mul_u32_u24_e32 v1, 0x506, v0
	v_add_u32_sdwa v5, s6, v1 dst_sel:DWORD dst_unused:UNUSED_PAD src0_sel:DWORD src1_sel:WORD_1
	s_waitcnt lgkmcnt(0)
	s_load_dwordx2 s[2:3], s[14:15], 0x0
	v_cmp_lt_u64_e64 s[0:1], s[10:11], 2
	v_mov_b32_e32 v3, 0
	v_mov_b32_e32 v1, 0
	;; [unrolled: 1-line block ×3, first 2 shown]
	s_and_b64 vcc, exec, s[0:1]
	v_mov_b32_e32 v2, 0
	s_cbranch_vccnz .LBB0_8
; %bb.1:
	s_load_dwordx2 s[0:1], s[4:5], 0x10
	s_add_u32 s6, s14, 8
	s_addc_u32 s7, s15, 0
	v_mov_b32_e32 v1, 0
	v_mov_b32_e32 v2, 0
	s_waitcnt lgkmcnt(0)
	s_add_u32 s16, s0, 8
	s_addc_u32 s17, s1, 0
	s_mov_b64 s[18:19], 1
.LBB0_2:                                ; =>This Inner Loop Header: Depth=1
	s_load_dwordx2 s[20:21], s[16:17], 0x0
                                        ; implicit-def: $vgpr7_vgpr8
	s_waitcnt lgkmcnt(0)
	v_or_b32_e32 v4, s21, v6
	v_cmp_ne_u64_e32 vcc, 0, v[3:4]
	s_and_saveexec_b64 s[0:1], vcc
	s_xor_b64 s[22:23], exec, s[0:1]
	s_cbranch_execz .LBB0_4
; %bb.3:                                ;   in Loop: Header=BB0_2 Depth=1
	v_cvt_f32_u32_e32 v4, s20
	v_cvt_f32_u32_e32 v7, s21
	s_sub_u32 s0, 0, s20
	s_subb_u32 s1, 0, s21
	v_mac_f32_e32 v4, 0x4f800000, v7
	v_rcp_f32_e32 v4, v4
	v_mul_f32_e32 v4, 0x5f7ffffc, v4
	v_mul_f32_e32 v7, 0x2f800000, v4
	v_trunc_f32_e32 v7, v7
	v_mac_f32_e32 v4, 0xcf800000, v7
	v_cvt_u32_f32_e32 v7, v7
	v_cvt_u32_f32_e32 v4, v4
	v_mul_lo_u32 v8, s0, v7
	v_mul_hi_u32 v9, s0, v4
	v_mul_lo_u32 v11, s1, v4
	v_mul_lo_u32 v10, s0, v4
	v_add_u32_e32 v8, v9, v8
	v_add_u32_e32 v8, v8, v11
	v_mul_hi_u32 v9, v4, v10
	v_mul_lo_u32 v11, v4, v8
	v_mul_hi_u32 v13, v4, v8
	v_mul_hi_u32 v12, v7, v10
	v_mul_lo_u32 v10, v7, v10
	v_mul_hi_u32 v14, v7, v8
	v_add_co_u32_e32 v9, vcc, v9, v11
	v_addc_co_u32_e32 v11, vcc, 0, v13, vcc
	v_mul_lo_u32 v8, v7, v8
	v_add_co_u32_e32 v9, vcc, v9, v10
	v_addc_co_u32_e32 v9, vcc, v11, v12, vcc
	v_addc_co_u32_e32 v10, vcc, 0, v14, vcc
	v_add_co_u32_e32 v8, vcc, v9, v8
	v_addc_co_u32_e32 v9, vcc, 0, v10, vcc
	v_add_co_u32_e32 v4, vcc, v4, v8
	v_addc_co_u32_e32 v7, vcc, v7, v9, vcc
	v_mul_lo_u32 v8, s0, v7
	v_mul_hi_u32 v9, s0, v4
	v_mul_lo_u32 v10, s1, v4
	v_mul_lo_u32 v11, s0, v4
	v_add_u32_e32 v8, v9, v8
	v_add_u32_e32 v8, v8, v10
	v_mul_lo_u32 v12, v4, v8
	v_mul_hi_u32 v13, v4, v11
	v_mul_hi_u32 v14, v4, v8
	;; [unrolled: 1-line block ×3, first 2 shown]
	v_mul_lo_u32 v11, v7, v11
	v_mul_hi_u32 v9, v7, v8
	v_add_co_u32_e32 v12, vcc, v13, v12
	v_addc_co_u32_e32 v13, vcc, 0, v14, vcc
	v_mul_lo_u32 v8, v7, v8
	v_add_co_u32_e32 v11, vcc, v12, v11
	v_addc_co_u32_e32 v10, vcc, v13, v10, vcc
	v_addc_co_u32_e32 v9, vcc, 0, v9, vcc
	v_add_co_u32_e32 v8, vcc, v10, v8
	v_addc_co_u32_e32 v9, vcc, 0, v9, vcc
	v_add_co_u32_e32 v4, vcc, v4, v8
	v_addc_co_u32_e32 v9, vcc, v7, v9, vcc
	v_mad_u64_u32 v[7:8], s[0:1], v5, v9, 0
	v_mul_hi_u32 v10, v5, v4
	v_add_co_u32_e32 v11, vcc, v10, v7
	v_addc_co_u32_e32 v12, vcc, 0, v8, vcc
	v_mad_u64_u32 v[7:8], s[0:1], v6, v4, 0
	v_mad_u64_u32 v[9:10], s[0:1], v6, v9, 0
	v_add_co_u32_e32 v4, vcc, v11, v7
	v_addc_co_u32_e32 v4, vcc, v12, v8, vcc
	v_addc_co_u32_e32 v7, vcc, 0, v10, vcc
	v_add_co_u32_e32 v4, vcc, v4, v9
	v_addc_co_u32_e32 v9, vcc, 0, v7, vcc
	v_mul_lo_u32 v10, s21, v4
	v_mul_lo_u32 v11, s20, v9
	v_mad_u64_u32 v[7:8], s[0:1], s20, v4, 0
	v_add3_u32 v8, v8, v11, v10
	v_sub_u32_e32 v10, v6, v8
	v_mov_b32_e32 v11, s21
	v_sub_co_u32_e32 v7, vcc, v5, v7
	v_subb_co_u32_e64 v10, s[0:1], v10, v11, vcc
	v_subrev_co_u32_e64 v11, s[0:1], s20, v7
	v_subbrev_co_u32_e64 v10, s[0:1], 0, v10, s[0:1]
	v_cmp_le_u32_e64 s[0:1], s21, v10
	v_cndmask_b32_e64 v12, 0, -1, s[0:1]
	v_cmp_le_u32_e64 s[0:1], s20, v11
	v_cndmask_b32_e64 v11, 0, -1, s[0:1]
	v_cmp_eq_u32_e64 s[0:1], s21, v10
	v_cndmask_b32_e64 v10, v12, v11, s[0:1]
	v_add_co_u32_e64 v11, s[0:1], 2, v4
	v_addc_co_u32_e64 v12, s[0:1], 0, v9, s[0:1]
	v_add_co_u32_e64 v13, s[0:1], 1, v4
	v_addc_co_u32_e64 v14, s[0:1], 0, v9, s[0:1]
	v_subb_co_u32_e32 v8, vcc, v6, v8, vcc
	v_cmp_ne_u32_e64 s[0:1], 0, v10
	v_cmp_le_u32_e32 vcc, s21, v8
	v_cndmask_b32_e64 v10, v14, v12, s[0:1]
	v_cndmask_b32_e64 v12, 0, -1, vcc
	v_cmp_le_u32_e32 vcc, s20, v7
	v_cndmask_b32_e64 v7, 0, -1, vcc
	v_cmp_eq_u32_e32 vcc, s21, v8
	v_cndmask_b32_e32 v7, v12, v7, vcc
	v_cmp_ne_u32_e32 vcc, 0, v7
	v_cndmask_b32_e64 v7, v13, v11, s[0:1]
	v_cndmask_b32_e32 v8, v9, v10, vcc
	v_cndmask_b32_e32 v7, v4, v7, vcc
.LBB0_4:                                ;   in Loop: Header=BB0_2 Depth=1
	s_andn2_saveexec_b64 s[0:1], s[22:23]
	s_cbranch_execz .LBB0_6
; %bb.5:                                ;   in Loop: Header=BB0_2 Depth=1
	v_cvt_f32_u32_e32 v4, s20
	s_sub_i32 s22, 0, s20
	v_rcp_iflag_f32_e32 v4, v4
	v_mul_f32_e32 v4, 0x4f7ffffe, v4
	v_cvt_u32_f32_e32 v4, v4
	v_mul_lo_u32 v7, s22, v4
	v_mul_hi_u32 v7, v4, v7
	v_add_u32_e32 v4, v4, v7
	v_mul_hi_u32 v4, v5, v4
	v_mul_lo_u32 v7, v4, s20
	v_add_u32_e32 v8, 1, v4
	v_sub_u32_e32 v7, v5, v7
	v_subrev_u32_e32 v9, s20, v7
	v_cmp_le_u32_e32 vcc, s20, v7
	v_cndmask_b32_e32 v7, v7, v9, vcc
	v_cndmask_b32_e32 v4, v4, v8, vcc
	v_add_u32_e32 v8, 1, v4
	v_cmp_le_u32_e32 vcc, s20, v7
	v_cndmask_b32_e32 v7, v4, v8, vcc
	v_mov_b32_e32 v8, v3
.LBB0_6:                                ;   in Loop: Header=BB0_2 Depth=1
	s_or_b64 exec, exec, s[0:1]
	v_mul_lo_u32 v4, v8, s20
	v_mul_lo_u32 v11, v7, s21
	v_mad_u64_u32 v[9:10], s[0:1], v7, s20, 0
	s_load_dwordx2 s[0:1], s[6:7], 0x0
	s_add_u32 s18, s18, 1
	v_add3_u32 v4, v10, v11, v4
	v_sub_co_u32_e32 v5, vcc, v5, v9
	v_subb_co_u32_e32 v4, vcc, v6, v4, vcc
	s_waitcnt lgkmcnt(0)
	v_mul_lo_u32 v4, s0, v4
	v_mul_lo_u32 v6, s1, v5
	v_mad_u64_u32 v[1:2], s[0:1], s0, v5, v[1:2]
	s_addc_u32 s19, s19, 0
	s_add_u32 s6, s6, 8
	v_add3_u32 v2, v6, v2, v4
	v_mov_b32_e32 v4, s10
	v_mov_b32_e32 v5, s11
	s_addc_u32 s7, s7, 0
	v_cmp_ge_u64_e32 vcc, s[18:19], v[4:5]
	s_add_u32 s16, s16, 8
	s_addc_u32 s17, s17, 0
	s_cbranch_vccnz .LBB0_9
; %bb.7:                                ;   in Loop: Header=BB0_2 Depth=1
	v_mov_b32_e32 v5, v7
	v_mov_b32_e32 v6, v8
	s_branch .LBB0_2
.LBB0_8:
	v_mov_b32_e32 v8, v6
	v_mov_b32_e32 v7, v5
.LBB0_9:
	s_lshl_b64 s[0:1], s[10:11], 3
	s_add_u32 s0, s14, s0
	s_addc_u32 s1, s15, s1
	s_load_dwordx2 s[6:7], s[0:1], 0x0
	s_load_dwordx2 s[10:11], s[4:5], 0x20
	v_mov_b32_e32 v11, 0
	v_mov_b32_e32 v10, 0
                                        ; implicit-def: $vgpr59
                                        ; implicit-def: $vgpr65
                                        ; implicit-def: $vgpr61
                                        ; implicit-def: $vgpr53
                                        ; implicit-def: $vgpr47
                                        ; implicit-def: $vgpr41
                                        ; implicit-def: $vgpr33
                                        ; implicit-def: $vgpr29
                                        ; implicit-def: $vgpr23
                                        ; implicit-def: $vgpr39
                                        ; implicit-def: $vgpr45
                                        ; implicit-def: $vgpr51
                                        ; implicit-def: $vgpr57
                                        ; implicit-def: $vgpr67
                                        ; implicit-def: $vgpr69
                                        ; implicit-def: $vgpr31
                                        ; implicit-def: $vgpr25
                                        ; implicit-def: $vgpr17
                                        ; implicit-def: $vgpr21
                                        ; implicit-def: $vgpr15
                                        ; implicit-def: $vgpr9
                                        ; implicit-def: $vgpr13
                                        ; implicit-def: $vgpr63
                                        ; implicit-def: $vgpr55
                                        ; implicit-def: $vgpr49
                                        ; implicit-def: $vgpr43
                                        ; implicit-def: $vgpr35
                                        ; implicit-def: $vgpr19
                                        ; implicit-def: $vgpr37
                                        ; implicit-def: $vgpr27
	s_waitcnt lgkmcnt(0)
	v_mad_u64_u32 v[1:2], s[0:1], s6, v7, v[1:2]
	s_mov_b32 s0, 0x5050506
	v_mul_lo_u32 v3, s6, v8
	v_mul_lo_u32 v4, s7, v7
	v_mul_hi_u32 v5, v0, s0
	v_cmp_gt_u64_e32 vcc, s[10:11], v[7:8]
                                        ; implicit-def: $vgpr7
	v_add3_u32 v2, v4, v2, v3
	v_mul_u32_u24_e32 v3, 51, v5
	v_sub_u32_e32 v70, v0, v3
	v_lshlrev_b64 v[0:1], 3, v[1:2]
                                        ; implicit-def: $vgpr3
                                        ; implicit-def: $vgpr5
	s_and_saveexec_b64 s[4:5], vcc
	s_cbranch_execz .LBB0_13
; %bb.10:
	v_mad_u64_u32 v[2:3], s[0:1], s2, v70, 0
	v_add_u32_e32 v7, 0x63, v70
	v_mov_b32_e32 v6, s13
	v_mad_u64_u32 v[3:4], s[0:1], s3, v70, v[3:4]
	v_mad_u64_u32 v[4:5], s[0:1], s2, v7, 0
	v_add_co_u32_e64 v63, s[0:1], s12, v0
	v_addc_co_u32_e64 v71, s[0:1], v6, v1, s[0:1]
	v_mad_u64_u32 v[5:6], s[0:1], s3, v7, v[5:6]
	v_add_u32_e32 v8, 0xc6, v70
	v_mad_u64_u32 v[6:7], s[0:1], s2, v8, 0
	v_lshlrev_b64 v[2:3], 3, v[2:3]
	v_add_u32_e32 v10, 0x129, v70
	v_add_co_u32_e64 v2, s[0:1], v63, v2
	v_addc_co_u32_e64 v3, s[0:1], v71, v3, s[0:1]
	v_mad_u64_u32 v[7:8], s[0:1], s3, v8, v[7:8]
	v_mad_u64_u32 v[8:9], s[0:1], s2, v10, 0
	v_lshlrev_b64 v[4:5], 3, v[4:5]
	v_add_u32_e32 v12, 0x18c, v70
	v_add_co_u32_e64 v4, s[0:1], v63, v4
	v_addc_co_u32_e64 v5, s[0:1], v71, v5, s[0:1]
	v_mad_u64_u32 v[9:10], s[0:1], s3, v10, v[9:10]
	;; [unrolled: 6-line block ×10, first 2 shown]
	v_mad_u64_u32 v[26:27], s[0:1], s2, v28, 0
	v_lshlrev_b64 v[22:23], 3, v[22:23]
                                        ; implicit-def: $vgpr62
	v_add_co_u32_e64 v30, s[0:1], v63, v22
	v_addc_co_u32_e64 v31, s[0:1], v71, v23, s[0:1]
	v_lshlrev_b64 v[22:23], 3, v[24:25]
	v_mov_b32_e32 v24, v27
	v_mad_u64_u32 v[24:25], s[0:1], s3, v28, v[24:25]
	v_add_u32_e32 v25, 0x507, v70
	v_mad_u64_u32 v[28:29], s[0:1], s2, v25, 0
	v_add_co_u32_e64 v34, s[0:1], v63, v22
	v_mov_b32_e32 v27, v24
	v_mov_b32_e32 v24, v29
	v_addc_co_u32_e64 v35, s[0:1], v71, v23, s[0:1]
	v_lshlrev_b64 v[22:23], 3, v[26:27]
	v_mad_u64_u32 v[24:25], s[0:1], s3, v25, v[24:25]
	v_add_u32_e32 v27, 0x56a, v70
	v_mad_u64_u32 v[25:26], s[0:1], s2, v27, 0
	v_add_co_u32_e64 v42, s[0:1], v63, v22
	v_mov_b32_e32 v29, v24
	v_mov_b32_e32 v24, v26
	v_addc_co_u32_e64 v43, s[0:1], v71, v23, s[0:1]
	v_lshlrev_b64 v[22:23], 3, v[28:29]
	v_mad_u64_u32 v[26:27], s[0:1], s3, v27, v[24:25]
	v_add_u32_e32 v29, 0x5cd, v70
	v_mad_u64_u32 v[27:28], s[0:1], s2, v29, 0
	v_add_co_u32_e64 v48, s[0:1], v63, v22
	v_mov_b32_e32 v24, v28
	v_addc_co_u32_e64 v49, s[0:1], v71, v23, s[0:1]
	v_lshlrev_b64 v[22:23], 3, v[25:26]
	v_mad_u64_u32 v[24:25], s[0:1], s3, v29, v[24:25]
	v_add_u32_e32 v29, 0x630, v70
	v_mad_u64_u32 v[25:26], s[0:1], s2, v29, 0
	v_add_co_u32_e64 v54, s[0:1], v63, v22
	v_mov_b32_e32 v28, v24
	v_mov_b32_e32 v24, v26
	v_addc_co_u32_e64 v55, s[0:1], v71, v23, s[0:1]
	v_lshlrev_b64 v[22:23], 3, v[27:28]
	v_mad_u64_u32 v[26:27], s[0:1], s3, v29, v[24:25]
	v_add_co_u32_e64 v72, s[0:1], v63, v22
	v_addc_co_u32_e64 v73, s[0:1], v71, v23, s[0:1]
	v_lshlrev_b64 v[22:23], 3, v[25:26]
	v_add_co_u32_e64 v24, s[0:1], v63, v22
	v_addc_co_u32_e64 v25, s[0:1], v71, v23, s[0:1]
	global_load_dwordx2 v[58:59], v[2:3], off
	global_load_dwordx2 v[64:65], v[4:5], off
	;; [unrolled: 1-line block ×15, first 2 shown]
                                        ; kill: killed $vgpr42 killed $vgpr43
                                        ; kill: killed $vgpr16 killed $vgpr17
                                        ; kill: killed $vgpr6 killed $vgpr7
                                        ; kill: killed $vgpr54 killed $vgpr55
                                        ; kill: killed $vgpr20 killed $vgpr21
                                        ; kill: killed $vgpr10 killed $vgpr11
                                        ; kill: killed $vgpr34 killed $vgpr35
                                        ; kill: killed $vgpr14 killed $vgpr15
                                        ; kill: killed $vgpr4 killed $vgpr5
                                        ; kill: killed $vgpr48 killed $vgpr49
                                        ; kill: killed $vgpr18 killed $vgpr19
                                        ; kill: killed $vgpr8 killed $vgpr9
                                        ; kill: killed $vgpr30 killed $vgpr31
                                        ; kill: killed $vgpr12 killed $vgpr13
                                        ; kill: killed $vgpr2 killed $vgpr3
	global_load_dwordx2 v[66:67], v[72:73], off
	global_load_dwordx2 v[68:69], v[24:25], off
	v_cmp_gt_u32_e64 s[0:1], 48, v70
	v_mov_b32_e32 v10, 0
	v_mov_b32_e32 v11, 0
                                        ; implicit-def: $vgpr18
                                        ; implicit-def: $vgpr34
                                        ; implicit-def: $vgpr42
                                        ; implicit-def: $vgpr48
                                        ; implicit-def: $vgpr54
                                        ; implicit-def: $vgpr12
                                        ; implicit-def: $vgpr6
                                        ; implicit-def: $vgpr4
                                        ; implicit-def: $vgpr2
                                        ; implicit-def: $vgpr8
                                        ; implicit-def: $vgpr14
                                        ; implicit-def: $vgpr20
                                        ; implicit-def: $vgpr16
                                        ; implicit-def: $vgpr24
                                        ; implicit-def: $vgpr30
	s_and_saveexec_b64 s[6:7], s[0:1]
	s_cbranch_execz .LBB0_12
; %bb.11:
	v_add_u32_e32 v6, 51, v70
	v_add_u32_e32 v8, 0x96, v70
	v_mad_u64_u32 v[2:3], s[0:1], s2, v6, 0
	v_mad_u64_u32 v[4:5], s[0:1], s2, v8, 0
	v_add_u32_e32 v10, 0x15c, v70
	v_add_u32_e32 v11, 0x1bf, v70
	v_mad_u64_u32 v[6:7], s[0:1], s3, v6, v[3:4]
	v_add_u32_e32 v18, 0x222, v70
	v_add_u32_e32 v54, 0x3ae, v70
	v_mov_b32_e32 v3, v6
	v_mad_u64_u32 v[5:6], s[0:1], s3, v8, v[5:6]
	v_add_u32_e32 v8, 0xf9, v70
	v_mad_u64_u32 v[6:7], s[0:1], s2, v8, 0
	v_lshlrev_b64 v[2:3], 3, v[2:3]
	v_lshlrev_b64 v[4:5], 3, v[4:5]
	v_add_co_u32_e64 v2, s[0:1], v63, v2
	v_addc_co_u32_e64 v3, s[0:1], v71, v3, s[0:1]
	v_mad_u64_u32 v[7:8], s[0:1], s3, v8, v[7:8]
	v_mad_u64_u32 v[8:9], s[0:1], s2, v10, 0
	v_add_co_u32_e64 v4, s[0:1], v63, v4
	v_lshlrev_b64 v[6:7], 3, v[6:7]
	v_addc_co_u32_e64 v5, s[0:1], v71, v5, s[0:1]
	v_mad_u64_u32 v[9:10], s[0:1], s3, v10, v[9:10]
	v_add_co_u32_e64 v6, s[0:1], v63, v6
	v_addc_co_u32_e64 v7, s[0:1], v71, v7, s[0:1]
	v_mad_u64_u32 v[12:13], s[0:1], s2, v11, 0
	v_lshlrev_b64 v[8:9], 3, v[8:9]
	v_add_u32_e32 v62, 0x53a, v70
	v_add_co_u32_e64 v8, s[0:1], v63, v8
	v_mov_b32_e32 v10, v13
	v_addc_co_u32_e64 v9, s[0:1], v71, v9, s[0:1]
	v_mad_u64_u32 v[13:14], s[0:1], s3, v11, v[10:11]
	v_mad_u64_u32 v[14:15], s[0:1], s2, v18, 0
	global_load_dwordx2 v[10:11], v[2:3], off
	global_load_dwordx2 v[30:31], v[4:5], off
	;; [unrolled: 1-line block ×4, first 2 shown]
	v_add_u32_e32 v7, 0x285, v70
	v_mov_b32_e32 v4, v15
	v_mad_u64_u32 v[4:5], s[0:1], s3, v18, v[4:5]
	v_mad_u64_u32 v[5:6], s[0:1], s2, v7, 0
	v_lshlrev_b64 v[2:3], 3, v[12:13]
	v_mov_b32_e32 v15, v4
	v_add_co_u32_e64 v12, s[0:1], v63, v2
	v_mov_b32_e32 v4, v6
	v_addc_co_u32_e64 v13, s[0:1], v71, v3, s[0:1]
	v_mad_u64_u32 v[6:7], s[0:1], s3, v7, v[4:5]
	v_add_u32_e32 v9, 0x2e8, v70
	v_mad_u64_u32 v[7:8], s[0:1], s2, v9, 0
	v_lshlrev_b64 v[2:3], 3, v[14:15]
	v_add_co_u32_e64 v18, s[0:1], v63, v2
	v_mov_b32_e32 v4, v8
	v_addc_co_u32_e64 v19, s[0:1], v71, v3, s[0:1]
	v_lshlrev_b64 v[2:3], 3, v[5:6]
	v_mad_u64_u32 v[4:5], s[0:1], s3, v9, v[4:5]
	v_add_co_u32_e64 v5, s[0:1], v63, v2
	v_mov_b32_e32 v8, v4
	v_add_u32_e32 v4, 0x34b, v70
	v_addc_co_u32_e64 v6, s[0:1], v71, v3, s[0:1]
	v_mad_u64_u32 v[34:35], s[0:1], s2, v4, 0
	v_lshlrev_b64 v[2:3], 3, v[7:8]
	v_add_co_u32_e64 v42, s[0:1], v63, v2
	v_addc_co_u32_e64 v43, s[0:1], v71, v3, s[0:1]
	v_mov_b32_e32 v2, v35
	v_mad_u64_u32 v[48:49], s[0:1], s2, v54, 0
	v_mad_u64_u32 v[7:8], s[0:1], s3, v4, v[2:3]
	global_load_dwordx2 v[20:21], v[12:13], off
	global_load_dwordx2 v[14:15], v[18:19], off
	;; [unrolled: 1-line block ×4, first 2 shown]
	v_mov_b32_e32 v6, v49
	v_mov_b32_e32 v35, v7
	v_mad_u64_u32 v[6:7], s[0:1], s3, v54, v[6:7]
	v_add_u32_e32 v7, 0x411, v70
	v_mad_u64_u32 v[12:13], s[0:1], s2, v7, 0
	v_lshlrev_b64 v[4:5], 3, v[34:35]
	v_mov_b32_e32 v49, v6
	v_add_co_u32_e64 v34, s[0:1], v63, v4
	v_mov_b32_e32 v6, v13
	v_addc_co_u32_e64 v35, s[0:1], v71, v5, s[0:1]
	v_mad_u64_u32 v[6:7], s[0:1], s3, v7, v[6:7]
	v_add_u32_e32 v7, 0x474, v70
	v_mad_u64_u32 v[18:19], s[0:1], s2, v7, 0
	v_lshlrev_b64 v[4:5], 3, v[48:49]
	v_mov_b32_e32 v13, v6
	v_add_co_u32_e64 v42, s[0:1], v63, v4
	v_mov_b32_e32 v6, v19
	v_addc_co_u32_e64 v43, s[0:1], v71, v5, s[0:1]
	v_mad_u64_u32 v[6:7], s[0:1], s3, v7, v[6:7]
	v_lshlrev_b64 v[4:5], 3, v[12:13]
	v_add_co_u32_e64 v48, s[0:1], v63, v4
	v_mov_b32_e32 v19, v6
	v_add_u32_e32 v6, 0x4d7, v70
	v_addc_co_u32_e64 v49, s[0:1], v71, v5, s[0:1]
	v_mad_u64_u32 v[54:55], s[0:1], s2, v6, 0
	v_lshlrev_b64 v[4:5], 3, v[18:19]
	v_add_co_u32_e64 v72, s[0:1], v63, v4
	v_mov_b32_e32 v4, v55
	v_addc_co_u32_e64 v73, s[0:1], v71, v5, s[0:1]
	v_mad_u64_u32 v[74:75], s[0:1], s3, v6, v[4:5]
	v_mad_u64_u32 v[75:76], s[0:1], s2, v62, 0
	global_load_dwordx2 v[4:5], v[34:35], off
	global_load_dwordx2 v[6:7], v[42:43], off
	;; [unrolled: 1-line block ×4, first 2 shown]
	v_mov_b32_e32 v55, v74
	v_mov_b32_e32 v42, v76
	v_mad_u64_u32 v[42:43], s[0:1], s3, v62, v[42:43]
	v_add_u32_e32 v43, 0x59d, v70
	v_mad_u64_u32 v[48:49], s[0:1], s2, v43, 0
	v_lshlrev_b64 v[34:35], 3, v[54:55]
	v_mov_b32_e32 v76, v42
	v_add_co_u32_e64 v72, s[0:1], v63, v34
	v_mov_b32_e32 v42, v49
	v_addc_co_u32_e64 v73, s[0:1], v71, v35, s[0:1]
	v_mad_u64_u32 v[42:43], s[0:1], s3, v43, v[42:43]
	v_or_b32_e32 v43, 0x600, v70
	v_mad_u64_u32 v[54:55], s[0:1], s2, v43, 0
	v_lshlrev_b64 v[34:35], 3, v[75:76]
	v_mov_b32_e32 v49, v42
	v_add_co_u32_e64 v74, s[0:1], v63, v34
	v_mov_b32_e32 v42, v55
	v_addc_co_u32_e64 v75, s[0:1], v71, v35, s[0:1]
	v_mad_u64_u32 v[42:43], s[0:1], s3, v43, v[42:43]
	v_lshlrev_b64 v[34:35], 3, v[48:49]
	v_add_co_u32_e64 v76, s[0:1], v63, v34
	v_mov_b32_e32 v55, v42
	v_add_u32_e32 v42, 0x663, v70
	v_addc_co_u32_e64 v77, s[0:1], v71, v35, s[0:1]
	v_mad_u64_u32 v[78:79], s[0:1], s2, v42, 0
	v_lshlrev_b64 v[34:35], 3, v[54:55]
	v_add_co_u32_e64 v80, s[0:1], v63, v34
	v_mov_b32_e32 v34, v79
	v_addc_co_u32_e64 v81, s[0:1], v71, v35, s[0:1]
	v_mad_u64_u32 v[82:83], s[0:1], s3, v42, v[34:35]
	global_load_dwordx2 v[34:35], v[72:73], off
	global_load_dwordx2 v[42:43], v[74:75], off
	;; [unrolled: 1-line block ×4, first 2 shown]
	v_mov_b32_e32 v79, v82
	v_lshlrev_b64 v[72:73], 3, v[78:79]
	v_add_co_u32_e64 v62, s[0:1], v63, v72
	v_addc_co_u32_e64 v63, s[0:1], v71, v73, s[0:1]
	global_load_dwordx2 v[62:63], v[62:63], off
.LBB0_12:
	s_or_b64 exec, exec, s[6:7]
.LBB0_13:
	s_or_b64 exec, exec, s[4:5]
	s_waitcnt vmcnt(15)
	v_add_f32_e32 v71, v58, v64
	s_waitcnt vmcnt(14)
	v_add_f32_e32 v71, v71, v60
	;; [unrolled: 2-line block ×16, first 2 shown]
	v_add_f32_e32 v71, v64, v68
	v_mul_f32_e32 v74, 0x3f6eb680, v71
	v_mul_f32_e32 v76, 0x3f3d2fb0, v71
	;; [unrolled: 1-line block ×8, first 2 shown]
	v_sub_f32_e32 v73, v65, v69
	v_mov_b32_e32 v75, v74
	v_mov_b32_e32 v77, v76
	;; [unrolled: 1-line block ×8, first 2 shown]
	v_fmac_f32_e32 v75, 0x3eb8f4ab, v73
	v_fmac_f32_e32 v74, 0xbeb8f4ab, v73
	;; [unrolled: 1-line block ×16, first 2 shown]
	v_add_f32_e32 v75, v75, v58
	v_add_f32_e32 v74, v74, v58
	;; [unrolled: 1-line block ×17, first 2 shown]
	v_sub_f32_e32 v73, v61, v67
	v_mul_f32_e32 v89, 0x3f3d2fb0, v71
	v_mov_b32_e32 v90, v89
	v_fmac_f32_e32 v89, 0xbf2c7751, v73
	v_fmac_f32_e32 v90, 0x3f2c7751, v73
	v_add_f32_e32 v74, v89, v74
	v_mul_f32_e32 v89, 0x3dbcf732, v71
	v_add_f32_e32 v75, v90, v75
	v_mov_b32_e32 v90, v89
	v_fmac_f32_e32 v89, 0xbf7ee86f, v73
	v_fmac_f32_e32 v90, 0x3f7ee86f, v73
	v_add_f32_e32 v76, v89, v76
	v_mul_f32_e32 v89, 0xbf1a4643, v71
	v_add_f32_e32 v77, v90, v77
	v_mov_b32_e32 v90, v89
	v_fmac_f32_e32 v89, 0xbf4c4adb, v73
	v_fmac_f32_e32 v90, 0x3f4c4adb, v73
	v_add_f32_e32 v78, v89, v78
	v_mul_f32_e32 v89, 0xbf7ba420, v71
	v_add_f32_e32 v79, v90, v79
	v_mov_b32_e32 v90, v89
	v_fmac_f32_e32 v89, 0xbe3c28d5, v73
	v_fmac_f32_e32 v90, 0x3e3c28d5, v73
	v_add_f32_e32 v80, v89, v80
	v_mul_f32_e32 v89, 0xbf59a7d5, v71
	v_add_f32_e32 v81, v90, v81
	v_mov_b32_e32 v90, v89
	v_fmac_f32_e32 v89, 0x3f06c442, v73
	v_fmac_f32_e32 v90, 0xbf06c442, v73
	v_add_f32_e32 v82, v89, v82
	v_mul_f32_e32 v89, 0xbe8c1d8e, v71
	v_add_f32_e32 v83, v90, v83
	v_mov_b32_e32 v90, v89
	v_fmac_f32_e32 v89, 0x3f763a35, v73
	v_fmac_f32_e32 v90, 0xbf763a35, v73
	v_add_f32_e32 v84, v89, v84
	v_mul_f32_e32 v89, 0x3ee437d1, v71
	v_add_f32_e32 v85, v90, v85
	v_mov_b32_e32 v90, v89
	v_fmac_f32_e32 v89, 0x3f65296c, v73
	v_mul_f32_e32 v71, 0x3f6eb680, v71
	v_add_f32_e32 v86, v89, v86
	v_mov_b32_e32 v89, v71
	v_fmac_f32_e32 v71, 0x3eb8f4ab, v73
	v_fmac_f32_e32 v89, 0xbeb8f4ab, v73
	v_add_f32_e32 v58, v71, v58
	v_add_f32_e32 v71, v52, v56
	v_fmac_f32_e32 v90, 0xbf65296c, v73
	v_add_f32_e32 v88, v89, v88
	v_sub_f32_e32 v73, v53, v57
	v_mul_f32_e32 v89, 0x3ee437d1, v71
	v_add_f32_e32 v87, v90, v87
	v_mov_b32_e32 v90, v89
	v_fmac_f32_e32 v89, 0xbf65296c, v73
	v_fmac_f32_e32 v90, 0x3f65296c, v73
	v_add_f32_e32 v74, v89, v74
	v_mul_f32_e32 v89, 0xbf1a4643, v71
	v_add_f32_e32 v75, v90, v75
	v_mov_b32_e32 v90, v89
	v_fmac_f32_e32 v89, 0xbf4c4adb, v73
	v_fmac_f32_e32 v90, 0x3f4c4adb, v73
	v_add_f32_e32 v76, v89, v76
	v_mul_f32_e32 v89, 0xbf7ba420, v71
	v_add_f32_e32 v77, v90, v77
	v_mov_b32_e32 v90, v89
	v_fmac_f32_e32 v89, 0x3e3c28d5, v73
	v_fmac_f32_e32 v90, 0xbe3c28d5, v73
	v_add_f32_e32 v78, v89, v78
	v_mul_f32_e32 v89, 0xbe8c1d8e, v71
	v_add_f32_e32 v79, v90, v79
	v_mov_b32_e32 v90, v89
	v_fmac_f32_e32 v89, 0x3f763a35, v73
	v_fmac_f32_e32 v90, 0xbf763a35, v73
	v_add_f32_e32 v80, v89, v80
	v_mul_f32_e32 v89, 0x3f3d2fb0, v71
	v_add_f32_e32 v81, v90, v81
	v_mov_b32_e32 v90, v89
	v_fmac_f32_e32 v89, 0x3f2c7751, v73
	v_fmac_f32_e32 v90, 0xbf2c7751, v73
	v_add_f32_e32 v82, v89, v82
	v_mul_f32_e32 v89, 0x3f6eb680, v71
	v_add_f32_e32 v83, v90, v83
	v_mov_b32_e32 v90, v89
	v_fmac_f32_e32 v89, 0xbeb8f4ab, v73
	v_fmac_f32_e32 v90, 0x3eb8f4ab, v73
	v_add_f32_e32 v84, v89, v84
	v_mul_f32_e32 v89, 0x3dbcf732, v71
	v_add_f32_e32 v85, v90, v85
	v_mov_b32_e32 v90, v89
	v_fmac_f32_e32 v89, 0xbf7ee86f, v73
	v_mul_f32_e32 v71, 0xbf59a7d5, v71
	v_add_f32_e32 v86, v89, v86
	v_mov_b32_e32 v89, v71
	v_fmac_f32_e32 v71, 0xbf06c442, v73
	v_fmac_f32_e32 v89, 0x3f06c442, v73
	v_add_f32_e32 v58, v71, v58
	v_add_f32_e32 v71, v46, v50
	v_fmac_f32_e32 v90, 0x3f7ee86f, v73
	v_add_f32_e32 v88, v89, v88
	v_sub_f32_e32 v73, v47, v51
	v_mul_f32_e32 v89, 0x3dbcf732, v71
	v_add_f32_e32 v87, v90, v87
	;; [unrolled: 50-line block ×6, first 2 shown]
	v_mov_b32_e32 v90, v89
	v_fmac_f32_e32 v89, 0xbe3c28d5, v73
	v_fmac_f32_e32 v90, 0x3e3c28d5, v73
	v_add_f32_e32 v74, v74, v89
	v_mul_f32_e32 v89, 0x3f6eb680, v71
	v_add_f32_e32 v75, v75, v90
	v_mov_b32_e32 v90, v89
	v_fmac_f32_e32 v89, 0x3eb8f4ab, v73
	v_fmac_f32_e32 v90, 0xbeb8f4ab, v73
	v_add_f32_e32 v76, v76, v89
	v_mul_f32_e32 v89, 0xbf59a7d5, v71
	v_add_f32_e32 v77, v77, v90
	;; [unrolled: 6-line block ×6, first 2 shown]
	v_mov_b32_e32 v90, v89
	v_fmac_f32_e32 v89, 0xbf763a35, v73
	v_mul_f32_e32 v71, 0x3dbcf732, v71
	v_add_f32_e32 v86, v86, v89
	v_mov_b32_e32 v89, v71
	v_fmac_f32_e32 v71, 0x3f7ee86f, v73
	s_movk_i32 s0, 0x44
	s_mov_b32 s11, 0x3f6eb680
	s_mov_b32 s10, 0x3f3d2fb0
	s_mov_b32 s7, 0x3ee437d1
	s_mov_b32 s6, 0x3dbcf732
	s_mov_b32 s14, 0xbe8c1d8e
	s_mov_b32 s15, 0xbf1a4643
	s_mov_b32 s16, 0xbf59a7d5
	s_mov_b32 s17, 0xbf7ba420
	v_fmac_f32_e32 v90, 0x3f763a35, v73
	v_fmac_f32_e32 v89, 0xbf7ee86f, v73
	v_add_f32_e32 v58, v58, v71
	v_mad_u32_u24 v71, v70, s0, 0
	v_cmp_gt_u32_e64 s[0:1], 48, v70
	v_add_f32_e32 v87, v87, v90
	v_add_f32_e32 v88, v88, v89
	ds_write2_b32 v71, v72, v75 offset1:1
	ds_write2_b32 v71, v77, v79 offset0:2 offset1:3
	ds_write2_b32 v71, v81, v83 offset0:4 offset1:5
	;; [unrolled: 1-line block ×7, first 2 shown]
	ds_write_b32 v71, v74 offset:64
	s_and_saveexec_b64 s[4:5], s[0:1]
	s_cbranch_execz .LBB0_15
; %bb.14:
	v_sub_f32_e32 v72, v31, v63
	v_mul_f32_e32 v73, 0xbe3c28d5, v72
	v_sub_f32_e32 v76, v25, v55
	v_add_f32_e32 v58, v30, v62
	v_mov_b32_e32 v74, v73
	v_mul_f32_e32 v77, 0x3eb8f4ab, v76
	v_fmac_f32_e32 v74, 0xbf7ba420, v58
	v_add_f32_e32 v75, v24, v54
	v_mov_b32_e32 v78, v77
	v_sub_f32_e32 v79, v17, v49
	v_add_f32_e32 v74, v10, v74
	v_fmac_f32_e32 v78, 0x3f6eb680, v75
	v_mul_f32_e32 v80, 0xbf06c442, v79
	v_add_f32_e32 v74, v74, v78
	v_add_f32_e32 v78, v16, v48
	v_mov_b32_e32 v81, v80
	v_sub_f32_e32 v82, v21, v43
	v_fmac_f32_e32 v81, 0xbf59a7d5, v78
	v_mul_f32_e32 v83, 0x3f2c7751, v82
	v_add_f32_e32 v74, v74, v81
	v_add_f32_e32 v81, v20, v42
	v_mov_b32_e32 v84, v83
	v_sub_f32_e32 v85, v15, v35
	;; [unrolled: 6-line block ×3, first 2 shown]
	v_fma_f32 v73, v58, s17, -v73
	v_fmac_f32_e32 v87, 0xbf1a4643, v84
	v_mul_f32_e32 v89, 0x3f65296c, v88
	v_add_f32_e32 v73, v10, v73
	v_fma_f32 v77, v75, s11, -v77
	v_add_f32_e32 v74, v74, v87
	v_add_f32_e32 v87, v8, v18
	v_mov_b32_e32 v90, v89
	v_sub_f32_e32 v91, v3, v13
	v_add_f32_e32 v73, v73, v77
	v_fma_f32 v77, v78, s16, -v80
	v_fmac_f32_e32 v90, 0x3ee437d1, v87
	v_mul_f32_e32 v92, 0xbf763a35, v91
	v_add_f32_e32 v73, v73, v77
	v_fma_f32 v77, v81, s10, -v83
	v_add_f32_e32 v74, v74, v90
	v_add_f32_e32 v90, v2, v12
	v_mov_b32_e32 v93, v92
	v_add_f32_e32 v73, v73, v77
	v_fma_f32 v77, v84, s15, -v86
	v_fmac_f32_e32 v93, 0xbe8c1d8e, v90
	v_sub_f32_e32 v94, v5, v7
	v_add_f32_e32 v73, v73, v77
	v_fma_f32 v77, v87, s7, -v89
	v_add_f32_e32 v74, v93, v74
	v_add_f32_e32 v93, v4, v6
	v_mul_f32_e32 v95, 0x3f7ee86f, v94
	v_add_f32_e32 v73, v73, v77
	v_fma_f32 v77, v90, s14, -v92
	v_add_f32_e32 v73, v77, v73
	v_fma_f32 v77, v93, s6, -v95
	v_add_f32_e32 v73, v77, v73
	v_mul_f32_e32 v77, 0xbf06c442, v72
	v_mov_b32_e32 v80, v77
	v_mul_f32_e32 v83, 0x3f65296c, v76
	v_fmac_f32_e32 v80, 0xbf59a7d5, v58
	v_mov_b32_e32 v86, v83
	v_add_f32_e32 v80, v10, v80
	v_fmac_f32_e32 v86, 0x3ee437d1, v75
	v_add_f32_e32 v80, v80, v86
	v_mul_f32_e32 v86, 0xbf7ee86f, v79
	v_mov_b32_e32 v89, v86
	v_fmac_f32_e32 v89, 0x3dbcf732, v78
	v_add_f32_e32 v80, v80, v89
	v_mul_f32_e32 v89, 0x3f4c4adb, v82
	v_mov_b32_e32 v92, v89
	v_fmac_f32_e32 v92, 0xbf1a4643, v81
	v_add_f32_e32 v80, v80, v92
	v_mul_f32_e32 v92, 0xbeb8f4ab, v85
	v_mov_b32_e32 v96, v95
	v_mov_b32_e32 v95, v92
	v_fmac_f32_e32 v95, 0x3f6eb680, v84
	v_fmac_f32_e32 v96, 0x3dbcf732, v93
	v_add_f32_e32 v80, v80, v95
	v_mul_f32_e32 v95, 0xbe3c28d5, v88
	v_fma_f32 v77, v58, s16, -v77
	v_add_f32_e32 v74, v96, v74
	v_mov_b32_e32 v96, v95
	v_add_f32_e32 v77, v10, v77
	v_fma_f32 v83, v75, s7, -v83
	v_fmac_f32_e32 v96, 0xbf7ba420, v87
	v_add_f32_e32 v77, v77, v83
	v_fma_f32 v83, v78, s6, -v86
	v_add_f32_e32 v80, v80, v96
	v_mul_f32_e32 v96, 0x3f2c7751, v91
	v_add_f32_e32 v77, v77, v83
	v_fma_f32 v83, v81, s15, -v89
	v_mov_b32_e32 v97, v96
	v_add_f32_e32 v77, v77, v83
	v_fma_f32 v83, v84, s11, -v92
	v_fmac_f32_e32 v97, 0x3f3d2fb0, v90
	v_add_f32_e32 v77, v77, v83
	v_fma_f32 v83, v87, s17, -v95
	v_add_f32_e32 v80, v97, v80
	v_mul_f32_e32 v97, 0xbf763a35, v94
	v_add_f32_e32 v77, v77, v83
	v_fma_f32 v83, v90, s10, -v96
	v_add_f32_e32 v77, v83, v77
	v_fma_f32 v83, v93, s14, -v97
	v_add_f32_e32 v77, v83, v77
	v_mul_f32_e32 v83, 0xbf4c4adb, v72
	v_mov_b32_e32 v86, v83
	v_mul_f32_e32 v89, 0x3f763a35, v76
	v_fmac_f32_e32 v86, 0xbf1a4643, v58
	v_mov_b32_e32 v92, v89
	v_add_f32_e32 v86, v10, v86
	v_fmac_f32_e32 v92, 0xbe8c1d8e, v75
	v_add_f32_e32 v86, v86, v92
	v_mul_f32_e32 v92, 0xbeb8f4ab, v79
	v_mov_b32_e32 v95, v92
	v_fmac_f32_e32 v95, 0x3f6eb680, v78
	v_add_f32_e32 v86, v86, v95
	v_mul_f32_e32 v95, 0xbf06c442, v82
	v_mov_b32_e32 v96, v95
	v_fmac_f32_e32 v96, 0xbf59a7d5, v81
	v_add_f32_e32 v86, v86, v96
	v_mul_f32_e32 v96, 0x3f7ee86f, v85
	v_mov_b32_e32 v98, v97
	v_mov_b32_e32 v97, v96
	v_fmac_f32_e32 v97, 0x3dbcf732, v84
	v_fmac_f32_e32 v98, 0xbe8c1d8e, v93
	v_add_f32_e32 v86, v86, v97
	v_mul_f32_e32 v97, 0xbf2c7751, v88
	v_fma_f32 v83, v58, s15, -v83
	v_add_f32_e32 v80, v98, v80
	v_mov_b32_e32 v98, v97
	v_add_f32_e32 v83, v10, v83
	v_fma_f32 v89, v75, s14, -v89
	v_fmac_f32_e32 v98, 0x3f3d2fb0, v87
	v_add_f32_e32 v83, v83, v89
	v_fma_f32 v89, v78, s11, -v92
	v_add_f32_e32 v86, v86, v98
	v_mul_f32_e32 v98, 0xbe3c28d5, v91
	v_add_f32_e32 v83, v83, v89
	v_fma_f32 v89, v81, s16, -v95
	v_mov_b32_e32 v99, v98
	v_add_f32_e32 v83, v83, v89
	v_fma_f32 v89, v84, s6, -v96
	v_fmac_f32_e32 v99, 0xbf7ba420, v90
	v_add_f32_e32 v83, v83, v89
	v_fma_f32 v89, v87, s10, -v97
	;; [unrolled: 48-line block ×6, first 2 shown]
	v_add_f32_e32 v100, v107, v100
	v_mul_f32_e32 v107, 0x3eb8f4ab, v94
	v_add_f32_e32 v99, v99, v101
	v_fma_f32 v101, v90, s7, -v106
	v_add_f32_e32 v99, v101, v99
	v_fma_f32 v101, v93, s11, -v107
	v_mul_f32_e32 v72, 0xbeb8f4ab, v72
	v_add_f32_e32 v99, v101, v99
	v_mov_b32_e32 v101, v72
	v_fmac_f32_e32 v101, 0x3f6eb680, v58
	v_fma_f32 v58, v58, s11, -v72
	v_add_f32_e32 v101, v10, v101
	v_add_f32_e32 v58, v10, v58
	;; [unrolled: 1-line block ×9, first 2 shown]
	v_mul_f32_e32 v76, 0xbf2c7751, v76
	v_add_f32_e32 v10, v10, v4
	v_mul_f32_e32 v79, 0xbf65296c, v79
	v_fma_f32 v72, v75, s10, -v76
	v_add_f32_e32 v10, v10, v6
	v_mov_b32_e32 v102, v76
	v_mul_f32_e32 v82, 0xbf7ee86f, v82
	v_add_f32_e32 v58, v58, v72
	v_fma_f32 v72, v78, s7, -v79
	v_add_f32_e32 v10, v10, v12
	v_fmac_f32_e32 v102, 0x3f3d2fb0, v75
	v_mul_f32_e32 v85, 0xbf763a35, v85
	v_add_f32_e32 v58, v58, v72
	v_fma_f32 v72, v81, s6, -v82
	v_add_f32_e32 v10, v10, v18
	v_add_f32_e32 v101, v101, v102
	v_mov_b32_e32 v102, v79
	v_mul_f32_e32 v88, 0xbf4c4adb, v88
	v_add_f32_e32 v58, v58, v72
	v_fma_f32 v72, v84, s14, -v85
	v_add_f32_e32 v10, v34, v10
	v_fmac_f32_e32 v102, 0x3ee437d1, v78
	v_mul_f32_e32 v91, 0xbf06c442, v91
	v_add_f32_e32 v58, v58, v72
	v_fma_f32 v72, v87, s15, -v88
	v_add_f32_e32 v10, v42, v10
	v_add_f32_e32 v101, v101, v102
	v_mov_b32_e32 v102, v82
	v_mul_f32_e32 v94, 0xbe3c28d5, v94
	v_add_f32_e32 v58, v58, v72
	v_fma_f32 v72, v90, s16, -v91
	v_add_f32_e32 v10, v48, v10
	v_fmac_f32_e32 v102, 0x3dbcf732, v81
	v_add_f32_e32 v58, v72, v58
	v_fma_f32 v72, v93, s17, -v94
	v_add_f32_e32 v10, v54, v10
	v_add_f32_e32 v101, v101, v102
	v_mov_b32_e32 v102, v85
	v_add_f32_e32 v58, v72, v58
	v_add_f32_e32 v10, v62, v10
	v_add_u32_e32 v72, 0xd8c, v71
	v_fmac_f32_e32 v102, 0xbe8c1d8e, v84
	ds_write2_b32 v72, v10, v58 offset1:1
	v_add_u32_e32 v10, 0xd94, v71
	v_add_f32_e32 v101, v101, v102
	v_mov_b32_e32 v102, v88
	ds_write2_b32 v10, v99, v97 offset1:1
	v_add_u32_e32 v10, 0xd9c, v71
	v_fmac_f32_e32 v102, 0xbf1a4643, v87
	ds_write2_b32 v10, v95, v89 offset1:1
	v_add_u32_e32 v10, 0xda4, v71
	v_add_f32_e32 v101, v101, v102
	v_mov_b32_e32 v102, v91
	ds_write2_b32 v10, v83, v77 offset1:1
	v_add_u32_e32 v10, 0xdac, v71
	v_mov_b32_e32 v108, v107
	v_fmac_f32_e32 v102, 0xbf59a7d5, v90
	ds_write2_b32 v10, v73, v74 offset1:1
	v_add_u32_e32 v10, 0xdb4, v71
	v_fmac_f32_e32 v108, 0x3f6eb680, v93
	v_add_f32_e32 v101, v102, v101
	v_mov_b32_e32 v102, v94
	ds_write2_b32 v10, v80, v86 offset1:1
	v_add_u32_e32 v10, 0xdbc, v71
	v_add_f32_e32 v100, v108, v100
	v_fmac_f32_e32 v102, 0xbf7ba420, v93
	ds_write2_b32 v10, v92, v96 offset1:1
	v_add_u32_e32 v10, 0xdc4, v71
	v_add_f32_e32 v101, v102, v101
	ds_write2_b32 v10, v98, v100 offset1:1
	ds_write_b32 v71, v101 offset:3532
.LBB0_15:
	s_or_b64 exec, exec, s[4:5]
	v_add_f32_e32 v10, v59, v65
	v_add_f32_e32 v10, v10, v61
	;; [unrolled: 1-line block ×14, first 2 shown]
	v_sub_f32_e32 v58, v64, v68
	v_add_f32_e32 v10, v10, v67
	v_mul_f32_e32 v64, 0xbeb8f4ab, v58
	v_mul_f32_e32 v68, 0xbf2c7751, v58
	;; [unrolled: 1-line block ×8, first 2 shown]
	v_add_f32_e32 v72, v10, v69
	v_add_f32_e32 v10, v65, v69
	v_mov_b32_e32 v65, v64
	v_mov_b32_e32 v69, v68
	;; [unrolled: 1-line block ×8, first 2 shown]
	v_fmac_f32_e32 v65, 0x3f6eb680, v10
	v_fma_f32 v64, v10, s11, -v64
	v_fmac_f32_e32 v69, 0x3f3d2fb0, v10
	v_fma_f32 v68, v10, s10, -v68
	;; [unrolled: 2-line block ×8, first 2 shown]
	v_add_f32_e32 v65, v65, v59
	v_add_f32_e32 v64, v64, v59
	;; [unrolled: 1-line block ×16, first 2 shown]
	v_sub_f32_e32 v59, v60, v66
	v_add_f32_e32 v58, v61, v67
	v_mul_f32_e32 v60, 0xbf2c7751, v59
	v_mov_b32_e32 v61, v60
	v_fma_f32 v60, v58, s10, -v60
	v_fmac_f32_e32 v61, 0x3f3d2fb0, v58
	v_add_f32_e32 v60, v60, v64
	v_mul_f32_e32 v64, 0xbf7ee86f, v59
	v_add_f32_e32 v61, v61, v65
	v_mov_b32_e32 v65, v64
	v_fma_f32 v64, v58, s6, -v64
	v_mul_f32_e32 v66, 0xbf4c4adb, v59
	v_fmac_f32_e32 v65, 0x3dbcf732, v58
	v_add_f32_e32 v64, v64, v68
	v_mov_b32_e32 v67, v66
	v_fma_f32 v66, v58, s15, -v66
	v_mul_f32_e32 v68, 0xbe3c28d5, v59
	v_add_f32_e32 v65, v65, v69
	v_fmac_f32_e32 v67, 0xbf1a4643, v58
	v_add_f32_e32 v66, v66, v73
	v_mov_b32_e32 v69, v68
	v_fma_f32 v68, v58, s17, -v68
	v_mul_f32_e32 v73, 0x3f06c442, v59
	v_add_f32_e32 v67, v67, v74
	;; [unrolled: 6-line block ×3, first 2 shown]
	v_fmac_f32_e32 v74, 0xbf59a7d5, v58
	v_add_f32_e32 v73, v73, v77
	v_mov_b32_e32 v76, v75
	v_fma_f32 v75, v58, s14, -v75
	v_mul_f32_e32 v77, 0x3f65296c, v59
	v_mul_f32_e32 v59, 0x3eb8f4ab, v59
	v_add_f32_e32 v74, v74, v78
	v_add_f32_e32 v75, v75, v79
	v_mov_b32_e32 v78, v77
	v_mov_b32_e32 v79, v59
	v_sub_f32_e32 v52, v52, v56
	v_fmac_f32_e32 v76, 0xbe8c1d8e, v58
	v_fmac_f32_e32 v78, 0x3ee437d1, v58
	v_fma_f32 v77, v58, s7, -v77
	v_fmac_f32_e32 v79, 0x3f6eb680, v58
	v_fma_f32 v58, v58, s11, -v59
	v_add_f32_e32 v53, v53, v57
	v_mul_f32_e32 v56, 0xbf65296c, v52
	v_add_f32_e32 v10, v58, v10
	v_mov_b32_e32 v57, v56
	v_fma_f32 v56, v53, s7, -v56
	v_mul_f32_e32 v58, 0xbf4c4adb, v52
	v_fmac_f32_e32 v57, 0x3ee437d1, v53
	v_add_f32_e32 v56, v56, v60
	v_mov_b32_e32 v59, v58
	v_fma_f32 v58, v53, s15, -v58
	v_mul_f32_e32 v60, 0x3e3c28d5, v52
	v_add_f32_e32 v57, v57, v61
	v_fmac_f32_e32 v59, 0xbf1a4643, v53
	v_add_f32_e32 v58, v58, v64
	v_mov_b32_e32 v61, v60
	v_fma_f32 v60, v53, s17, -v60
	v_mul_f32_e32 v64, 0x3f763a35, v52
	v_add_f32_e32 v59, v59, v65
	v_fmac_f32_e32 v61, 0xbf7ba420, v53
	v_add_f32_e32 v60, v60, v66
	v_mov_b32_e32 v65, v64
	v_fma_f32 v64, v53, s14, -v64
	v_mul_f32_e32 v66, 0x3f2c7751, v52
	v_add_f32_e32 v61, v61, v67
	v_fmac_f32_e32 v65, 0xbe8c1d8e, v53
	v_add_f32_e32 v64, v64, v68
	v_mov_b32_e32 v67, v66
	v_fma_f32 v66, v53, s10, -v66
	v_mul_f32_e32 v68, 0xbeb8f4ab, v52
	v_add_f32_e32 v65, v65, v69
	v_add_f32_e32 v66, v66, v73
	v_mov_b32_e32 v69, v68
	v_fma_f32 v68, v53, s11, -v68
	v_mul_f32_e32 v73, 0xbf7ee86f, v52
	v_mul_f32_e32 v52, 0xbf06c442, v52
	v_sub_f32_e32 v46, v46, v50
	v_fmac_f32_e32 v67, 0x3f3d2fb0, v53
	v_add_f32_e32 v68, v68, v75
	v_mov_b32_e32 v75, v52
	v_fma_f32 v52, v53, s16, -v52
	v_add_f32_e32 v47, v47, v51
	v_mul_f32_e32 v50, 0xbf7ee86f, v46
	v_add_f32_e32 v67, v67, v74
	v_mov_b32_e32 v74, v73
	v_add_f32_e32 v10, v52, v10
	v_mov_b32_e32 v51, v50
	v_fma_f32 v50, v47, s6, -v50
	v_mul_f32_e32 v52, 0xbe3c28d5, v46
	v_fmac_f32_e32 v69, 0x3f6eb680, v53
	v_fmac_f32_e32 v74, 0x3dbcf732, v53
	v_fma_f32 v73, v53, s6, -v73
	v_fmac_f32_e32 v75, 0xbf59a7d5, v53
	v_fmac_f32_e32 v51, 0x3dbcf732, v47
	v_add_f32_e32 v50, v50, v56
	v_mov_b32_e32 v53, v52
	v_fma_f32 v52, v47, s17, -v52
	v_mul_f32_e32 v56, 0x3f763a35, v46
	v_add_f32_e32 v51, v51, v57
	v_fmac_f32_e32 v53, 0xbf7ba420, v47
	v_add_f32_e32 v52, v52, v58
	v_mov_b32_e32 v57, v56
	v_fma_f32 v56, v47, s14, -v56
	v_mul_f32_e32 v58, 0x3eb8f4ab, v46
	v_add_f32_e32 v53, v53, v59
	v_fmac_f32_e32 v57, 0xbe8c1d8e, v47
	v_add_f32_e32 v56, v56, v60
	v_mov_b32_e32 v59, v58
	v_fma_f32 v58, v47, s11, -v58
	v_mul_f32_e32 v60, 0xbf65296c, v46
	v_add_f32_e32 v57, v57, v61
	v_fmac_f32_e32 v59, 0x3f6eb680, v47
	v_add_f32_e32 v58, v58, v64
	v_mov_b32_e32 v61, v60
	v_fma_f32 v60, v47, s7, -v60
	v_mul_f32_e32 v64, 0xbf06c442, v46
	v_add_f32_e32 v59, v59, v65
	v_add_f32_e32 v60, v60, v66
	v_mov_b32_e32 v65, v64
	v_fma_f32 v64, v47, s16, -v64
	v_mul_f32_e32 v66, 0x3f4c4adb, v46
	v_mul_f32_e32 v46, 0x3f2c7751, v46
	v_sub_f32_e32 v40, v40, v44
	v_fmac_f32_e32 v61, 0x3ee437d1, v47
	v_add_f32_e32 v64, v64, v68
	v_mov_b32_e32 v68, v46
	v_fma_f32 v46, v47, s10, -v46
	v_add_f32_e32 v41, v41, v45
	v_mul_f32_e32 v44, 0xbf763a35, v40
	v_add_f32_e32 v61, v61, v67
	v_mov_b32_e32 v67, v66
	v_add_f32_e32 v10, v46, v10
	v_mov_b32_e32 v45, v44
	v_fma_f32 v44, v41, s14, -v44
	v_mul_f32_e32 v46, 0x3f06c442, v40
	v_fmac_f32_e32 v65, 0xbf59a7d5, v47
	v_fmac_f32_e32 v67, 0xbf1a4643, v47
	v_fma_f32 v66, v47, s15, -v66
	v_fmac_f32_e32 v68, 0x3f3d2fb0, v47
	;; [unrolled: 46-line block ×3, first 2 shown]
	v_fmac_f32_e32 v39, 0xbf1a4643, v33
	v_add_f32_e32 v38, v38, v44
	v_mov_b32_e32 v41, v40
	v_fma_f32 v40, v33, s14, -v40
	v_mul_f32_e32 v44, 0xbeb8f4ab, v32
	v_add_f32_e32 v39, v39, v45
	v_fmac_f32_e32 v41, 0xbe8c1d8e, v33
	v_add_f32_e32 v40, v40, v46
	v_mov_b32_e32 v45, v44
	v_fma_f32 v44, v33, s11, -v44
	v_mul_f32_e32 v46, 0xbf06c442, v32
	v_add_f32_e32 v41, v41, v47
	;; [unrolled: 6-line block ×4, first 2 shown]
	v_add_f32_e32 v50, v50, v56
	v_mov_b32_e32 v53, v52
	v_fma_f32 v52, v33, s10, -v52
	v_mul_f32_e32 v56, 0xbe3c28d5, v32
	v_mul_f32_e32 v32, 0x3f65296c, v32
	v_fmac_f32_e32 v51, 0x3dbcf732, v33
	v_add_f32_e32 v52, v52, v58
	v_mov_b32_e32 v58, v32
	v_fma_f32 v32, v33, s7, -v32
	v_sub_f32_e32 v28, v28, v36
	v_add_f32_e32 v51, v51, v57
	v_mov_b32_e32 v57, v56
	v_add_f32_e32 v10, v32, v10
	v_add_f32_e32 v29, v37, v29
	v_mul_f32_e32 v32, 0xbf06c442, v28
	v_sub_f32_e32 v22, v22, v26
	v_add_f32_e32 v78, v78, v82
	v_fmac_f32_e32 v53, 0x3f3d2fb0, v33
	v_fmac_f32_e32 v57, 0xbf7ba420, v33
	v_fma_f32 v56, v33, s17, -v56
	v_fmac_f32_e32 v58, 0x3ee437d1, v33
	v_mov_b32_e32 v33, v32
	v_fma_f32 v32, v29, s16, -v32
	v_add_f32_e32 v23, v27, v23
	v_mul_f32_e32 v26, 0xbe3c28d5, v22
	v_add_f32_e32 v77, v77, v81
	v_add_f32_e32 v74, v74, v78
	v_fmac_f32_e32 v33, 0xbf59a7d5, v29
	v_add_f32_e32 v32, v38, v32
	v_mul_f32_e32 v36, 0x3f65296c, v28
	v_mov_b32_e32 v27, v26
	v_fma_f32 v26, v23, s17, -v26
	v_add_f32_e32 v73, v73, v77
	v_add_f32_e32 v67, v67, v74
	;; [unrolled: 1-line block ×3, first 2 shown]
	v_mov_b32_e32 v37, v36
	v_fma_f32 v36, v29, s7, -v36
	v_fmac_f32_e32 v27, 0xbf7ba420, v23
	v_add_f32_e32 v74, v32, v26
	v_mul_f32_e32 v26, 0x3eb8f4ab, v22
	v_add_f32_e32 v76, v76, v80
	v_add_f32_e32 v79, v79, v83
	;; [unrolled: 1-line block ×3, first 2 shown]
	v_fmac_f32_e32 v37, 0x3ee437d1, v29
	v_add_f32_e32 v36, v40, v36
	v_mul_f32_e32 v38, 0xbf7ee86f, v28
	v_add_f32_e32 v73, v33, v27
	v_mov_b32_e32 v27, v26
	v_fma_f32 v26, v23, s11, -v26
	v_add_f32_e32 v69, v69, v76
	v_add_f32_e32 v75, v75, v79
	;; [unrolled: 1-line block ×3, first 2 shown]
	v_mov_b32_e32 v39, v38
	v_fma_f32 v38, v29, s6, -v38
	v_fmac_f32_e32 v27, 0x3f6eb680, v23
	v_add_f32_e32 v76, v36, v26
	v_mul_f32_e32 v26, 0xbf06c442, v22
	v_add_f32_e32 v68, v68, v75
	v_fmac_f32_e32 v39, 0x3dbcf732, v29
	v_add_f32_e32 v38, v44, v38
	v_mul_f32_e32 v40, 0x3f4c4adb, v28
	v_add_f32_e32 v75, v37, v27
	v_mov_b32_e32 v27, v26
	v_fma_f32 v26, v23, s16, -v26
	v_add_f32_e32 v39, v45, v39
	v_mov_b32_e32 v41, v40
	v_fma_f32 v40, v29, s15, -v40
	v_fmac_f32_e32 v27, 0xbf59a7d5, v23
	v_add_f32_e32 v86, v38, v26
	v_mul_f32_e32 v26, 0x3f2c7751, v22
	v_fmac_f32_e32 v41, 0xbf1a4643, v29
	v_add_f32_e32 v40, v46, v40
	v_mul_f32_e32 v44, 0xbeb8f4ab, v28
	v_add_f32_e32 v77, v39, v27
	v_mov_b32_e32 v27, v26
	v_fma_f32 v26, v23, s10, -v26
	v_add_f32_e32 v41, v47, v41
	v_mov_b32_e32 v45, v44
	v_fma_f32 v44, v29, s11, -v44
	v_fmac_f32_e32 v27, 0x3f3d2fb0, v23
	v_add_f32_e32 v88, v40, v26
	v_mul_f32_e32 v26, 0xbf4c4adb, v22
	v_add_f32_e32 v65, v65, v69
	v_fmac_f32_e32 v45, 0x3f6eb680, v29
	v_add_f32_e32 v44, v50, v44
	v_mul_f32_e32 v46, 0xbe3c28d5, v28
	v_add_f32_e32 v87, v41, v27
	v_mov_b32_e32 v27, v26
	v_fma_f32 v26, v23, s15, -v26
	v_add_f32_e32 v59, v59, v65
	v_add_f32_e32 v45, v51, v45
	v_mov_b32_e32 v47, v46
	v_fma_f32 v46, v29, s17, -v46
	v_fmac_f32_e32 v27, 0xbf1a4643, v23
	v_add_f32_e32 v90, v44, v26
	v_mul_f32_e32 v26, 0x3f65296c, v22
	v_add_f32_e32 v60, v60, v66
	v_add_f32_e32 v53, v53, v59
	v_fmac_f32_e32 v47, 0xbf7ba420, v29
	v_add_f32_e32 v46, v52, v46
	v_mul_f32_e32 v50, 0x3f2c7751, v28
	v_add_f32_e32 v89, v45, v27
	v_mov_b32_e32 v27, v26
	v_fma_f32 v26, v23, s7, -v26
	v_add_f32_e32 v56, v56, v60
	v_add_f32_e32 v47, v53, v47
	v_mov_b32_e32 v51, v50
	v_fma_f32 v50, v29, s10, -v50
	v_mul_f32_e32 v28, 0xbf763a35, v28
	v_fmac_f32_e32 v27, 0x3ee437d1, v23
	v_add_f32_e32 v92, v46, v26
	v_mul_f32_e32 v26, 0xbf763a35, v22
	v_add_f32_e32 v50, v56, v50
	v_mov_b32_e32 v52, v28
	v_fma_f32 v28, v29, s14, -v28
	v_add_f32_e32 v91, v47, v27
	v_mov_b32_e32 v27, v26
	v_fma_f32 v26, v23, s14, -v26
	v_mul_f32_e32 v22, 0x3f7ee86f, v22
	v_add_f32_e32 v10, v10, v28
	v_add_f32_e32 v94, v50, v26
	v_mov_b32_e32 v26, v22
	v_fma_f32 v22, v23, s6, -v22
	v_add_f32_e32 v96, v10, v22
	v_lshlrev_b32_e32 v10, 6, v70
	v_add_f32_e32 v61, v61, v67
	v_add_f32_e32 v64, v64, v68
	v_sub_u32_e32 v69, v71, v10
	v_add_f32_e32 v57, v57, v61
	v_add_f32_e32 v58, v58, v64
	v_fmac_f32_e32 v51, 0x3f3d2fb0, v29
	v_fmac_f32_e32 v52, 0xbe8c1d8e, v29
	v_add_u32_e32 v10, 0x600, v69
	v_add_u32_e32 v82, 0x1000, v69
	;; [unrolled: 1-line block ×3, first 2 shown]
	v_add_f32_e32 v51, v57, v51
	v_add_f32_e32 v52, v58, v52
	v_fmac_f32_e32 v27, 0xbe8c1d8e, v23
	v_fmac_f32_e32 v26, 0x3dbcf732, v23
	s_waitcnt lgkmcnt(0)
	; wave barrier
	s_waitcnt lgkmcnt(0)
	ds_read2_b32 v[38:39], v69 offset1:51
	ds_read2_b32 v[22:23], v10 offset0:126 offset1:177
	ds_read2_b32 v[66:67], v82 offset0:98 offset1:149
	;; [unrolled: 1-line block ×7, first 2 shown]
	v_add_u32_e32 v83, 0x1400, v69
	v_add_u32_e32 v79, 0xc00, v69
	;; [unrolled: 1-line block ×3, first 2 shown]
	v_add_f32_e32 v93, v51, v27
	v_add_f32_e32 v95, v52, v26
	ds_read2_b32 v[56:57], v83 offset0:46 offset1:97
	ds_read2_b32 v[52:53], v79 offset0:48 offset1:99
	;; [unrolled: 1-line block ×6, first 2 shown]
	v_add_u32_e32 v84, 0x1600, v69
	v_add_u32_e32 v81, 0xe00, v69
	ds_read2_b32 v[44:45], v84 offset0:122 offset1:173
	ds_read2_b32 v[40:41], v81 offset0:124 offset1:175
	ds_read_b32 v85, v69 offset:6528
	v_add_u32_e32 v68, 51, v70
	s_waitcnt lgkmcnt(0)
	; wave barrier
	s_waitcnt lgkmcnt(0)
	ds_write2_b32 v71, v72, v73 offset1:1
	ds_write2_b32 v71, v75, v77 offset0:2 offset1:3
	ds_write2_b32 v71, v87, v89 offset0:4 offset1:5
	;; [unrolled: 1-line block ×7, first 2 shown]
	ds_write_b32 v71, v74 offset:64
	s_and_saveexec_b64 s[4:5], s[0:1]
	s_cbranch_execz .LBB0_17
; %bb.16:
	v_add_f32_e32 v71, v11, v31
	v_add_f32_e32 v71, v71, v25
	;; [unrolled: 1-line block ×13, first 2 shown]
	v_sub_f32_e32 v30, v30, v62
	v_add_f32_e32 v71, v49, v71
	v_mul_f32_e32 v62, 0xbeb8f4ab, v30
	v_mul_f32_e32 v72, 0xbf2c7751, v30
	;; [unrolled: 1-line block ×8, first 2 shown]
	v_add_f32_e32 v71, v55, v71
	v_add_f32_e32 v31, v31, v63
	s_mov_b32 s10, 0x3f6eb680
	s_mov_b32 s6, 0x3f3d2fb0
	;; [unrolled: 1-line block ×8, first 2 shown]
	v_mov_b32_e32 v92, v30
	v_add_f32_e32 v71, v63, v71
	v_fma_f32 v63, v31, s10, -v62
	v_fmac_f32_e32 v62, 0x3f6eb680, v31
	v_fma_f32 v73, v31, s6, -v72
	v_fmac_f32_e32 v72, 0x3f3d2fb0, v31
	;; [unrolled: 2-line block ×7, first 2 shown]
	v_fmac_f32_e32 v92, 0xbf7ba420, v31
	v_fma_f32 v30, v31, s15, -v30
	v_sub_f32_e32 v24, v24, v54
	v_add_f32_e32 v62, v11, v62
	v_add_f32_e32 v63, v11, v63
	v_add_f32_e32 v72, v11, v72
	v_add_f32_e32 v73, v11, v73
	v_add_f32_e32 v74, v11, v74
	v_add_f32_e32 v75, v11, v75
	v_add_f32_e32 v76, v11, v76
	v_add_f32_e32 v77, v11, v77
	v_add_f32_e32 v86, v11, v86
	v_add_f32_e32 v87, v11, v87
	v_add_f32_e32 v88, v11, v88
	v_add_f32_e32 v89, v11, v89
	v_add_f32_e32 v90, v11, v90
	v_add_f32_e32 v91, v11, v91
	v_add_f32_e32 v92, v11, v92
	v_add_f32_e32 v11, v11, v30
	v_add_f32_e32 v25, v25, v55
	v_mul_f32_e32 v30, 0xbf2c7751, v24
	v_fma_f32 v31, v25, s6, -v30
	v_fmac_f32_e32 v30, 0x3f3d2fb0, v25
	v_mul_f32_e32 v54, 0xbf7ee86f, v24
	v_add_f32_e32 v30, v62, v30
	v_fma_f32 v55, v25, s0, -v54
	v_fmac_f32_e32 v54, 0x3dbcf732, v25
	v_mul_f32_e32 v62, 0xbf4c4adb, v24
	v_add_f32_e32 v31, v63, v31
	v_add_f32_e32 v54, v72, v54
	v_fma_f32 v63, v25, s11, -v62
	v_fmac_f32_e32 v62, 0xbf1a4643, v25
	v_mul_f32_e32 v72, 0xbe3c28d5, v24
	v_add_f32_e32 v55, v73, v55
	;; [unrolled: 5-line block ×4, first 2 shown]
	v_add_f32_e32 v74, v86, v74
	v_fma_f32 v77, v25, s7, -v76
	v_fmac_f32_e32 v76, 0xbe8c1d8e, v25
	v_mul_f32_e32 v86, 0x3f65296c, v24
	v_mul_f32_e32 v24, 0x3eb8f4ab, v24
	v_add_f32_e32 v76, v88, v76
	v_mov_b32_e32 v88, v24
	v_fma_f32 v24, v25, s10, -v24
	v_sub_f32_e32 v16, v16, v48
	v_add_f32_e32 v11, v11, v24
	v_add_f32_e32 v17, v17, v49
	v_mul_f32_e32 v24, 0xbf65296c, v16
	v_add_f32_e32 v75, v87, v75
	v_fma_f32 v87, v25, s1, -v86
	v_fmac_f32_e32 v86, 0x3ee437d1, v25
	v_fmac_f32_e32 v88, 0x3f6eb680, v25
	v_fma_f32 v25, v17, s1, -v24
	v_fmac_f32_e32 v24, 0x3ee437d1, v17
	v_add_f32_e32 v24, v30, v24
	v_mul_f32_e32 v30, 0xbf4c4adb, v16
	v_add_f32_e32 v25, v31, v25
	v_fma_f32 v31, v17, s11, -v30
	v_fmac_f32_e32 v30, 0xbf1a4643, v17
	v_mul_f32_e32 v48, 0x3e3c28d5, v16
	v_add_f32_e32 v30, v54, v30
	v_fma_f32 v49, v17, s15, -v48
	v_fmac_f32_e32 v48, 0xbf7ba420, v17
	v_mul_f32_e32 v54, 0x3f763a35, v16
	v_add_f32_e32 v31, v55, v31
	v_add_f32_e32 v48, v62, v48
	v_fma_f32 v55, v17, s7, -v54
	v_fmac_f32_e32 v54, 0xbe8c1d8e, v17
	v_mul_f32_e32 v62, 0x3f2c7751, v16
	v_add_f32_e32 v49, v63, v49
	;; [unrolled: 5-line block ×3, first 2 shown]
	v_add_f32_e32 v62, v74, v62
	v_fma_f32 v73, v17, s10, -v72
	v_fmac_f32_e32 v72, 0x3f6eb680, v17
	v_mul_f32_e32 v74, 0xbf7ee86f, v16
	v_mul_f32_e32 v16, 0xbf06c442, v16
	v_add_f32_e32 v72, v76, v72
	v_mov_b32_e32 v76, v16
	v_add_f32_e32 v63, v75, v63
	v_fma_f32 v75, v17, s0, -v74
	v_fmac_f32_e32 v74, 0x3dbcf732, v17
	v_fmac_f32_e32 v76, 0xbf59a7d5, v17
	v_fma_f32 v16, v17, s14, -v16
	v_sub_f32_e32 v17, v20, v42
	v_add_f32_e32 v11, v11, v16
	v_add_f32_e32 v16, v21, v43
	v_mul_f32_e32 v20, 0xbf7ee86f, v17
	v_fma_f32 v21, v16, s0, -v20
	v_fmac_f32_e32 v20, 0x3dbcf732, v16
	v_add_f32_e32 v20, v24, v20
	v_mul_f32_e32 v24, 0xbe3c28d5, v17
	v_add_f32_e32 v21, v25, v21
	v_fma_f32 v25, v16, s15, -v24
	v_fmac_f32_e32 v24, 0xbf7ba420, v16
	v_add_f32_e32 v24, v30, v24
	v_mul_f32_e32 v30, 0x3f763a35, v17
	v_add_f32_e32 v25, v31, v25
	v_fma_f32 v31, v16, s7, -v30
	v_fmac_f32_e32 v30, 0xbe8c1d8e, v16
	v_mul_f32_e32 v42, 0x3eb8f4ab, v17
	v_add_f32_e32 v30, v48, v30
	v_fma_f32 v43, v16, s10, -v42
	v_fmac_f32_e32 v42, 0x3f6eb680, v16
	v_mul_f32_e32 v48, 0xbf65296c, v17
	v_add_f32_e32 v31, v49, v31
	v_add_f32_e32 v42, v54, v42
	v_fma_f32 v49, v16, s1, -v48
	v_fmac_f32_e32 v48, 0x3ee437d1, v16
	v_mul_f32_e32 v54, 0xbf06c442, v17
	v_add_f32_e32 v43, v55, v43
	v_add_f32_e32 v48, v62, v48
	v_fma_f32 v55, v16, s14, -v54
	v_fmac_f32_e32 v54, 0xbf59a7d5, v16
	v_mul_f32_e32 v62, 0x3f4c4adb, v17
	v_mul_f32_e32 v17, 0x3f2c7751, v17
	v_add_f32_e32 v54, v72, v54
	v_mov_b32_e32 v72, v17
	v_add_f32_e32 v49, v63, v49
	v_fma_f32 v63, v16, s11, -v62
	v_fmac_f32_e32 v62, 0xbf1a4643, v16
	v_fmac_f32_e32 v72, 0x3f3d2fb0, v16
	v_fma_f32 v16, v16, s6, -v17
	v_sub_f32_e32 v14, v14, v34
	v_add_f32_e32 v11, v11, v16
	v_add_f32_e32 v15, v15, v35
	v_mul_f32_e32 v16, 0xbf763a35, v14
	v_fma_f32 v17, v15, s7, -v16
	v_fmac_f32_e32 v16, 0xbe8c1d8e, v15
	v_add_f32_e32 v16, v20, v16
	v_mul_f32_e32 v20, 0x3f06c442, v14
	v_add_f32_e32 v17, v21, v17
	v_fma_f32 v21, v15, s14, -v20
	v_fmac_f32_e32 v20, 0xbf59a7d5, v15
	v_add_f32_e32 v20, v24, v20
	v_mul_f32_e32 v24, 0x3f2c7751, v14
	v_add_f32_e32 v21, v25, v21
	;; [unrolled: 5-line block ×3, first 2 shown]
	v_fma_f32 v31, v15, s1, -v30
	v_fmac_f32_e32 v30, 0x3ee437d1, v15
	v_mul_f32_e32 v34, 0xbe3c28d5, v14
	v_add_f32_e32 v30, v42, v30
	v_fma_f32 v35, v15, s15, -v34
	v_fmac_f32_e32 v34, 0xbf7ba420, v15
	v_mul_f32_e32 v42, 0x3f7ee86f, v14
	v_add_f32_e32 v31, v43, v31
	v_add_f32_e32 v34, v48, v34
	v_fma_f32 v43, v15, s0, -v42
	v_fmac_f32_e32 v42, 0x3dbcf732, v15
	v_mul_f32_e32 v48, 0xbeb8f4ab, v14
	v_mul_f32_e32 v14, 0xbf4c4adb, v14
	v_add_f32_e32 v42, v54, v42
	v_mov_b32_e32 v54, v14
	v_fma_f32 v14, v15, s11, -v14
	v_sub_f32_e32 v8, v8, v18
	v_add_f32_e32 v11, v11, v14
	v_add_f32_e32 v9, v9, v19
	v_mul_f32_e32 v14, 0xbf4c4adb, v8
	v_add_f32_e32 v35, v49, v35
	v_fma_f32 v49, v15, s10, -v48
	v_fmac_f32_e32 v48, 0x3f6eb680, v15
	v_fmac_f32_e32 v54, 0xbf1a4643, v15
	v_fma_f32 v15, v9, s11, -v14
	v_fmac_f32_e32 v14, 0xbf1a4643, v9
	v_add_f32_e32 v14, v16, v14
	v_mul_f32_e32 v16, 0x3f763a35, v8
	v_add_f32_e32 v15, v17, v15
	v_fma_f32 v17, v9, s7, -v16
	v_fmac_f32_e32 v16, 0xbe8c1d8e, v9
	v_mul_f32_e32 v18, 0xbeb8f4ab, v8
	v_add_f32_e32 v16, v20, v16
	v_fma_f32 v19, v9, s10, -v18
	v_fmac_f32_e32 v18, 0x3f6eb680, v9
	v_mul_f32_e32 v20, 0xbf06c442, v8
	v_add_f32_e32 v17, v21, v17
	v_add_f32_e32 v18, v24, v18
	v_fma_f32 v21, v9, s14, -v20
	v_fmac_f32_e32 v20, 0xbf59a7d5, v9
	v_mul_f32_e32 v24, 0x3f7ee86f, v8
	v_add_f32_e32 v19, v25, v19
	;; [unrolled: 5-line block ×3, first 2 shown]
	v_add_f32_e32 v24, v34, v24
	v_fma_f32 v31, v9, s6, -v30
	v_fmac_f32_e32 v30, 0x3f3d2fb0, v9
	v_mul_f32_e32 v34, 0xbe3c28d5, v8
	v_mul_f32_e32 v8, 0x3f65296c, v8
	v_add_f32_e32 v30, v42, v30
	v_mov_b32_e32 v42, v8
	v_sub_f32_e32 v2, v2, v12
	v_add_f32_e32 v25, v35, v25
	v_fma_f32 v35, v9, s15, -v34
	v_fmac_f32_e32 v34, 0xbf7ba420, v9
	v_fmac_f32_e32 v42, 0x3ee437d1, v9
	v_fma_f32 v8, v9, s1, -v8
	v_add_f32_e32 v3, v3, v13
	v_mul_f32_e32 v9, 0xbf06c442, v2
	v_add_f32_e32 v8, v11, v8
	v_fma_f32 v11, v3, s14, -v9
	v_fmac_f32_e32 v9, 0xbf59a7d5, v3
	v_mul_f32_e32 v12, 0x3f65296c, v2
	v_add_f32_e32 v9, v9, v14
	v_fma_f32 v13, v3, s1, -v12
	v_fmac_f32_e32 v12, 0x3ee437d1, v3
	v_mul_f32_e32 v14, 0xbf7ee86f, v2
	v_add_f32_e32 v11, v11, v15
	v_add_f32_e32 v12, v12, v16
	v_fma_f32 v15, v3, s0, -v14
	v_fmac_f32_e32 v14, 0x3dbcf732, v3
	v_mul_f32_e32 v16, 0x3f4c4adb, v2
	v_add_f32_e32 v13, v13, v17
	;; [unrolled: 5-line block ×4, first 2 shown]
	v_add_f32_e32 v18, v18, v24
	v_fma_f32 v21, v3, s15, -v20
	v_fmac_f32_e32 v20, 0xbf7ba420, v3
	v_mul_f32_e32 v24, 0x3f2c7751, v2
	v_mul_f32_e32 v2, 0xbf763a35, v2
	v_add_f32_e32 v20, v20, v30
	v_mov_b32_e32 v30, v2
	v_sub_f32_e32 v4, v4, v6
	v_add_f32_e32 v19, v19, v25
	v_fma_f32 v25, v3, s6, -v24
	v_fmac_f32_e32 v24, 0x3f3d2fb0, v3
	v_fmac_f32_e32 v30, 0xbe8c1d8e, v3
	v_fma_f32 v2, v3, s7, -v2
	v_add_f32_e32 v3, v5, v7
	v_mul_f32_e32 v5, 0xbe3c28d5, v4
	v_fma_f32 v6, v3, s15, -v5
	v_fmac_f32_e32 v5, 0xbf7ba420, v3
	v_mul_f32_e32 v7, 0x3eb8f4ab, v4
	v_add_f32_e32 v2, v2, v8
	v_add_f32_e32 v5, v5, v9
	v_fma_f32 v8, v3, s10, -v7
	v_fmac_f32_e32 v7, 0x3f6eb680, v3
	v_mul_f32_e32 v9, 0xbf06c442, v4
	v_add_f32_e32 v6, v6, v11
	v_add_f32_e32 v7, v7, v12
	;; [unrolled: 5-line block ×3, first 2 shown]
	v_add_f32_e32 v87, v91, v87
	v_add_f32_e32 v88, v92, v88
	;; [unrolled: 1-line block ×4, first 2 shown]
	v_fma_f32 v13, v3, s6, -v12
	v_fmac_f32_e32 v12, 0x3f3d2fb0, v3
	v_mul_f32_e32 v14, 0xbf4c4adb, v4
	v_add_f32_e32 v73, v77, v73
	v_add_f32_e32 v74, v86, v74
	;; [unrolled: 1-line block ×6, first 2 shown]
	v_fma_f32 v15, v3, s11, -v14
	v_fmac_f32_e32 v14, 0xbf1a4643, v3
	v_mul_f32_e32 v16, 0x3f65296c, v4
	v_add_f32_e32 v55, v73, v55
	v_add_f32_e32 v62, v74, v62
	;; [unrolled: 1-line block ×6, first 2 shown]
	v_fma_f32 v17, v3, s1, -v16
	v_fmac_f32_e32 v16, 0x3ee437d1, v3
	v_mul_f32_e32 v18, 0xbf763a35, v4
	v_mul_f32_e32 v4, 0x3f7ee86f, v4
	v_add_f32_e32 v43, v55, v43
	v_add_f32_e32 v48, v62, v48
	;; [unrolled: 1-line block ×5, first 2 shown]
	v_mov_b32_e32 v20, v4
	v_add_f32_e32 v31, v43, v31
	v_add_f32_e32 v34, v48, v34
	;; [unrolled: 1-line block ×5, first 2 shown]
	v_fma_f32 v19, v3, s7, -v18
	v_fmac_f32_e32 v18, 0xbe8c1d8e, v3
	v_fmac_f32_e32 v20, 0x3dbcf732, v3
	v_fma_f32 v3, v3, s0, -v4
	s_movk_i32 s0, 0x44
	v_add_f32_e32 v21, v21, v31
	v_add_f32_e32 v24, v24, v34
	;; [unrolled: 1-line block ×5, first 2 shown]
	v_mad_u32_u24 v3, v68, s0, 0
	v_add_f32_e32 v17, v17, v21
	v_add_f32_e32 v18, v18, v24
	;; [unrolled: 1-line block ×4, first 2 shown]
	ds_write2_b32 v3, v71, v5 offset1:1
	ds_write2_b32 v3, v7, v9 offset0:2 offset1:3
	ds_write2_b32 v3, v12, v14 offset0:4 offset1:5
	;; [unrolled: 1-line block ×7, first 2 shown]
	ds_write_b32 v3, v6 offset:64
.LBB0_17:
	s_or_b64 exec, exec, s[4:5]
	s_movk_i32 s0, 0xf1
	v_mul_lo_u16_sdwa v2, v70, s0 dst_sel:DWORD dst_unused:UNUSED_PAD src0_sel:BYTE_0 src1_sel:DWORD
	v_lshrrev_b16_e32 v21, 12, v2
	v_mul_lo_u16_e32 v2, 17, v21
	v_sub_u16_e32 v25, v70, v2
	v_mov_b32_e32 v2, 4
	v_lshlrev_b32_sdwa v3, v2, v25 dst_sel:DWORD dst_unused:UNUSED_PAD src0_sel:DWORD src1_sel:BYTE_0
	s_waitcnt lgkmcnt(0)
	; wave barrier
	s_waitcnt lgkmcnt(0)
	global_load_dwordx4 v[6:9], v3, s[8:9]
	v_mul_lo_u16_sdwa v4, v68, s0 dst_sel:DWORD dst_unused:UNUSED_PAD src0_sel:BYTE_0 src1_sel:DWORD
	v_lshrrev_b16_e32 v48, 12, v4
	v_mul_lo_u16_e32 v3, 17, v48
	v_sub_u16_e32 v49, v68, v3
	v_lshlrev_b32_sdwa v3, v2, v49 dst_sel:DWORD dst_unused:UNUSED_PAD src0_sel:DWORD src1_sel:BYTE_0
	global_load_dwordx4 v[11:14], v3, s[8:9]
	v_add_u32_e32 v77, 0x66, v70
	v_mul_lo_u16_sdwa v3, v77, s0 dst_sel:DWORD dst_unused:UNUSED_PAD src0_sel:BYTE_0 src1_sel:DWORD
	v_lshrrev_b16_e32 v54, 12, v3
	v_mul_lo_u16_e32 v3, 17, v54
	v_sub_u16_e32 v55, v77, v3
	v_lshlrev_b32_sdwa v3, v2, v55 dst_sel:DWORD dst_unused:UNUSED_PAD src0_sel:DWORD src1_sel:BYTE_0
	global_load_dwordx4 v[15:18], v3, s[8:9]
	v_add_u32_e32 v76, 0x99, v70
	v_mul_lo_u16_sdwa v3, v76, s0 dst_sel:DWORD dst_unused:UNUSED_PAD src0_sel:BYTE_0 src1_sel:DWORD
	v_lshrrev_b16_e32 v110, 12, v3
	v_mul_lo_u16_e32 v3, 17, v110
	v_sub_u16_e32 v111, v76, v3
	v_add_u32_e32 v75, 0xcc, v70
	v_lshlrev_b32_sdwa v3, v2, v111 dst_sel:DWORD dst_unused:UNUSED_PAD src0_sel:DWORD src1_sel:BYTE_0
	global_load_dwordx4 v[86:89], v3, s[8:9]
	v_mul_lo_u16_sdwa v3, v75, s0 dst_sel:DWORD dst_unused:UNUSED_PAD src0_sel:BYTE_0 src1_sel:DWORD
	v_lshrrev_b16_e32 v112, 12, v3
	v_mul_lo_u16_e32 v3, 17, v112
	v_sub_u16_e32 v113, v75, v3
	v_lshlrev_b32_sdwa v2, v2, v113 dst_sel:DWORD dst_unused:UNUSED_PAD src0_sel:DWORD src1_sel:BYTE_0
	v_add_u32_e32 v74, 0xff, v70
	global_load_dwordx4 v[90:93], v2, s[8:9]
	ds_read2_b32 v[4:5], v10 offset0:126 offset1:177
	ds_read2_b32 v[2:3], v82 offset0:98 offset1:149
	s_mov_b32 s0, 0xf0f1
	v_add_u32_e32 v71, 0x198, v70
	v_add_u32_e32 v63, 0x1cb, v70
	v_mul_u32_u24_sdwa v19, v74, s0 dst_sel:DWORD dst_unused:UNUSED_PAD src0_sel:WORD_0 src1_sel:DWORD
	v_add_u32_e32 v72, 0x165, v70
	v_lshrrev_b32_e32 v114, 20, v19
	v_mul_u32_u24_sdwa v31, v71, s0 dst_sel:DWORD dst_unused:UNUSED_PAD src0_sel:WORD_0 src1_sel:DWORD
	v_mul_u32_u24_sdwa v34, v63, s0 dst_sel:DWORD dst_unused:UNUSED_PAD src0_sel:WORD_0 src1_sel:DWORD
	v_mul_lo_u16_e32 v19, 17, v114
	v_mul_u32_u24_sdwa v30, v72, s0 dst_sel:DWORD dst_unused:UNUSED_PAD src0_sel:WORD_0 src1_sel:DWORD
	v_lshrrev_b32_e32 v119, 20, v31
	v_lshrrev_b32_e32 v120, 20, v34
	v_sub_u16_e32 v115, v74, v19
	v_lshrrev_b32_e32 v118, 20, v30
	v_mul_lo_u16_e32 v30, 17, v119
	v_mul_lo_u16_e32 v31, 17, v120
	v_lshlrev_b32_e32 v19, 4, v115
	v_sub_u16_e32 v122, v71, v30
	v_sub_u16_e32 v127, v63, v31
	v_add_u32_e32 v73, 0x132, v70
	global_load_dwordx4 v[94:97], v19, s[8:9]
	v_mul_u32_u24_sdwa v24, v73, s0 dst_sel:DWORD dst_unused:UNUSED_PAD src0_sel:WORD_0 src1_sel:DWORD
	v_add_u32_e32 v62, 0x1fe, v70
	v_lshrrev_b32_e32 v116, 20, v24
	v_mul_lo_u16_e32 v24, 17, v116
	v_sub_u16_e32 v117, v73, v24
	v_lshlrev_b32_e32 v24, 4, v117
	global_load_dwordx4 v[98:101], v24, s[8:9]
	s_mov_b32 s4, 0x3f575c64
	s_mov_b32 s1, 0xbe11bafb
	;; [unrolled: 1-line block ×4, first 2 shown]
	s_waitcnt vmcnt(6) lgkmcnt(1)
	v_mul_f32_e32 v30, v5, v7
	v_mul_f32_e32 v123, v23, v7
	s_waitcnt lgkmcnt(0)
	v_mul_f32_e32 v7, v2, v9
	v_mul_f32_e32 v9, v66, v9
	v_fmac_f32_e32 v9, v2, v8
	v_lshlrev_b32_e32 v2, 4, v127
	v_fma_f32 v125, v23, v6, -v30
	v_fmac_f32_e32 v123, v5, v6
	v_fma_f32 v66, v66, v8, -v7
	global_load_dwordx4 v[5:8], v2, s[8:9]
	ds_read2_b32 v[19:20], v78 offset0:100 offset1:151
	v_mul_u32_u24_sdwa v2, v62, s0 dst_sel:DWORD dst_unused:UNUSED_PAD src0_sel:WORD_0 src1_sel:DWORD
	v_lshrrev_b32_e32 v128, 20, v2
	v_mul_lo_u16_e32 v2, 17, v128
	s_waitcnt vmcnt(6)
	v_mul_f32_e32 v124, v64, v12
	s_waitcnt lgkmcnt(0)
	v_mul_f32_e32 v34, v19, v12
	v_mul_f32_e32 v12, v3, v14
	v_sub_u16_e32 v129, v62, v2
	v_fma_f32 v126, v67, v13, -v12
	v_mul_f32_e32 v67, v67, v14
	v_lshlrev_b32_e32 v2, 4, v129
	v_fma_f32 v64, v64, v11, -v34
	v_fmac_f32_e32 v124, v19, v11
	v_fmac_f32_e32 v67, v3, v13
	global_load_dwordx4 v[11:14], v2, s[8:9]
	v_mul_lo_u16_e32 v24, 17, v118
	v_sub_u16_e32 v121, v72, v24
	v_lshlrev_b32_e32 v24, 4, v121
	global_load_dwordx4 v[102:105], v24, s[8:9]
	v_lshlrev_b32_e32 v24, 4, v122
	global_load_dwordx4 v[106:109], v24, s[8:9]
	ds_read2_b32 v[2:3], v82 offset0:200 offset1:251
	s_waitcnt vmcnt(8)
	v_mul_f32_e32 v19, v20, v16
	v_fma_f32 v130, v65, v15, -v19
	v_mul_f32_e32 v65, v65, v16
	v_fmac_f32_e32 v65, v20, v15
	s_waitcnt lgkmcnt(0)
	v_mul_f32_e32 v15, v2, v18
	v_fma_f32 v131, v60, v17, -v15
	v_mul_f32_e32 v60, v60, v18
	v_fmac_f32_e32 v60, v2, v17
	ds_read2_b32 v[15:16], v78 offset0:202 offset1:253
	ds_read2_b32 v[17:18], v69 offset1:51
	s_waitcnt vmcnt(7)
	v_mul_f32_e32 v2, v3, v89
	v_fma_f32 v132, v61, v88, -v2
	v_mul_f32_e32 v61, v61, v89
	s_waitcnt lgkmcnt(1)
	v_mul_f32_e32 v2, v15, v87
	v_fma_f32 v89, v58, v86, -v2
	v_fmac_f32_e32 v61, v3, v88
	ds_read2_b32 v[19:20], v69 offset0:102 offset1:153
	ds_read2_b32 v[2:3], v83 offset0:46 offset1:97
	v_mul_f32_e32 v58, v58, v87
	v_fmac_f32_e32 v58, v15, v86
	s_waitcnt vmcnt(6)
	v_mul_f32_e32 v15, v16, v91
	v_fma_f32 v86, v59, v90, -v15
	v_mul_f32_e32 v59, v59, v91
	s_waitcnt lgkmcnt(0)
	v_mul_f32_e32 v15, v2, v93
	v_fmac_f32_e32 v59, v16, v90
	v_fma_f32 v87, v56, v92, -v15
	ds_read2_b32 v[15:16], v79 offset0:48 offset1:99
	ds_read2_b32 v[23:24], v69 offset0:204 offset1:255
	v_mul_f32_e32 v56, v56, v93
	v_fmac_f32_e32 v56, v2, v92
	s_waitcnt vmcnt(5)
	v_mul_f32_e32 v2, v3, v97
	v_fma_f32 v88, v57, v96, -v2
	v_mul_f32_e32 v57, v57, v97
	s_waitcnt lgkmcnt(1)
	v_mul_f32_e32 v2, v15, v95
	v_fma_f32 v90, v52, v94, -v2
	v_fmac_f32_e32 v57, v3, v96
	ds_read2_b32 v[30:31], v80 offset0:50 offset1:101
	ds_read2_b32 v[2:3], v83 offset0:148 offset1:199
	v_mul_f32_e32 v52, v52, v95
	v_fmac_f32_e32 v52, v15, v94
	s_waitcnt vmcnt(4)
	v_mul_f32_e32 v15, v16, v99
	v_fma_f32 v91, v53, v98, -v15
	v_mul_f32_e32 v53, v53, v99
	s_waitcnt lgkmcnt(0)
	v_mul_f32_e32 v15, v2, v101
	v_fmac_f32_e32 v53, v16, v98
	v_fma_f32 v92, v50, v100, -v15
	ds_read2_b32 v[15:16], v79 offset0:150 offset1:201
	ds_read2_b32 v[34:35], v80 offset0:152 offset1:203
	v_mul_f32_e32 v50, v50, v101
	v_fmac_f32_e32 v50, v2, v100
	s_movk_i32 s0, 0xa1
	s_waitcnt vmcnt(1)
	v_mul_f32_e32 v2, v3, v105
	v_fma_f32 v93, v51, v104, -v2
	v_mul_f32_e32 v51, v51, v105
	s_waitcnt lgkmcnt(1)
	v_mul_f32_e32 v2, v15, v103
	v_fma_f32 v94, v46, v102, -v2
	v_fmac_f32_e32 v51, v3, v104
	ds_read2_b32 v[2:3], v84 offset0:122 offset1:173
	ds_read2_b32 v[42:43], v81 offset0:124 offset1:175
	v_mul_f32_e32 v46, v46, v103
	v_fmac_f32_e32 v46, v15, v102
	s_waitcnt vmcnt(0)
	v_mul_f32_e32 v15, v16, v107
	v_fma_f32 v15, v47, v106, -v15
	v_mul_f32_e32 v47, v47, v107
	ds_read_b32 v95, v69 offset:6528
	v_fmac_f32_e32 v47, v16, v106
	s_waitcnt lgkmcnt(2)
	v_mul_f32_e32 v16, v2, v109
	v_fma_f32 v16, v44, v108, -v16
	v_mul_f32_e32 v44, v44, v109
	v_fmac_f32_e32 v44, v2, v108
	s_waitcnt lgkmcnt(1)
	v_mul_f32_e32 v2, v42, v6
	v_mul_f32_e32 v6, v40, v6
	v_fma_f32 v2, v40, v5, -v2
	v_fmac_f32_e32 v6, v42, v5
	v_mul_f32_e32 v5, v3, v8
	v_mul_f32_e32 v8, v45, v8
	v_fma_f32 v5, v45, v7, -v5
	v_fmac_f32_e32 v8, v3, v7
	;; [unrolled: 4-line block ×3, first 2 shown]
	s_waitcnt lgkmcnt(0)
	v_mul_f32_e32 v11, v95, v14
	v_mul_f32_e32 v12, v85, v14
	v_add_f32_e32 v14, v125, v66
	v_fma_f32 v14, -0.5, v14, v38
	v_fma_f32 v11, v85, v13, -v11
	v_fmac_f32_e32 v12, v95, v13
	v_add_f32_e32 v13, v38, v125
	v_sub_f32_e32 v38, v123, v9
	v_mov_b32_e32 v40, v14
	v_fmac_f32_e32 v40, 0x3f5db3d7, v38
	v_fmac_f32_e32 v14, 0xbf5db3d7, v38
	v_add_f32_e32 v38, v17, v123
	v_add_f32_e32 v38, v38, v9
	;; [unrolled: 1-line block ×3, first 2 shown]
	v_fma_f32 v9, -0.5, v9, v17
	v_add_f32_e32 v13, v13, v66
	v_sub_f32_e32 v17, v125, v66
	v_mov_b32_e32 v66, v9
	v_add_f32_e32 v41, v64, v126
	v_fmac_f32_e32 v66, 0xbf5db3d7, v17
	v_fmac_f32_e32 v9, 0x3f5db3d7, v17
	v_add_f32_e32 v17, v39, v64
	v_fmac_f32_e32 v39, -0.5, v41
	v_sub_f32_e32 v41, v124, v67
	v_mov_b32_e32 v42, v39
	v_fmac_f32_e32 v42, 0x3f5db3d7, v41
	v_fmac_f32_e32 v39, 0xbf5db3d7, v41
	v_add_f32_e32 v41, v18, v124
	v_add_f32_e32 v85, v41, v67
	;; [unrolled: 1-line block ×3, first 2 shown]
	v_fmac_f32_e32 v18, -0.5, v41
	v_sub_f32_e32 v41, v64, v126
	v_mov_b32_e32 v64, v18
	v_add_f32_e32 v43, v130, v131
	v_fmac_f32_e32 v64, 0xbf5db3d7, v41
	v_fmac_f32_e32 v18, 0x3f5db3d7, v41
	v_add_f32_e32 v41, v36, v130
	v_fma_f32 v36, -0.5, v43, v36
	v_sub_f32_e32 v43, v65, v60
	v_mov_b32_e32 v45, v36
	v_fmac_f32_e32 v45, 0x3f5db3d7, v43
	v_fmac_f32_e32 v36, 0xbf5db3d7, v43
	v_add_f32_e32 v43, v19, v65
	v_add_f32_e32 v67, v43, v60
	;; [unrolled: 1-line block ×3, first 2 shown]
	v_fma_f32 v19, -0.5, v43, v19
	v_sub_f32_e32 v43, v130, v131
	v_mov_b32_e32 v60, v19
	v_add_f32_e32 v65, v89, v132
	v_fmac_f32_e32 v60, 0xbf5db3d7, v43
	v_fmac_f32_e32 v19, 0x3f5db3d7, v43
	v_add_f32_e32 v43, v37, v89
	v_fmac_f32_e32 v37, -0.5, v65
	v_sub_f32_e32 v65, v58, v61
	v_mov_b32_e32 v95, v37
	v_fmac_f32_e32 v95, 0x3f5db3d7, v65
	v_fmac_f32_e32 v37, 0xbf5db3d7, v65
	v_add_f32_e32 v65, v20, v58
	v_add_f32_e32 v58, v58, v61
	v_fmac_f32_e32 v20, -0.5, v58
	v_add_f32_e32 v65, v65, v61
	v_sub_f32_e32 v58, v89, v132
	v_mov_b32_e32 v61, v20
	v_add_f32_e32 v89, v86, v87
	v_fmac_f32_e32 v61, 0xbf5db3d7, v58
	v_fmac_f32_e32 v20, 0x3f5db3d7, v58
	v_add_f32_e32 v58, v32, v86
	v_fma_f32 v32, -0.5, v89, v32
	v_sub_f32_e32 v89, v59, v56
	v_mov_b32_e32 v96, v32
	v_fmac_f32_e32 v96, 0x3f5db3d7, v89
	v_fmac_f32_e32 v32, 0xbf5db3d7, v89
	v_add_f32_e32 v89, v23, v59
	v_add_f32_e32 v89, v89, v56
	;; [unrolled: 1-line block ×3, first 2 shown]
	v_fma_f32 v23, -0.5, v56, v23
	v_sub_f32_e32 v56, v86, v87
	v_mov_b32_e32 v59, v23
	v_add_f32_e32 v86, v90, v88
	v_fmac_f32_e32 v59, 0xbf5db3d7, v56
	v_fmac_f32_e32 v23, 0x3f5db3d7, v56
	v_add_f32_e32 v56, v33, v90
	v_fmac_f32_e32 v33, -0.5, v86
	v_add_f32_e32 v58, v58, v87
	v_sub_f32_e32 v86, v52, v57
	v_mov_b32_e32 v87, v33
	v_fmac_f32_e32 v87, 0x3f5db3d7, v86
	v_fmac_f32_e32 v33, 0xbf5db3d7, v86
	v_add_f32_e32 v86, v24, v52
	v_add_f32_e32 v52, v52, v57
	v_fmac_f32_e32 v24, -0.5, v52
	v_add_f32_e32 v56, v56, v88
	v_add_f32_e32 v86, v86, v57
	v_sub_f32_e32 v52, v90, v88
	v_mov_b32_e32 v88, v24
	v_add_f32_e32 v57, v91, v92
	v_fmac_f32_e32 v88, 0xbf5db3d7, v52
	v_fmac_f32_e32 v24, 0x3f5db3d7, v52
	v_add_f32_e32 v52, v28, v91
	v_fma_f32 v28, -0.5, v57, v28
	v_sub_f32_e32 v57, v53, v50
	v_mov_b32_e32 v90, v28
	v_fmac_f32_e32 v90, 0x3f5db3d7, v57
	v_fmac_f32_e32 v28, 0xbf5db3d7, v57
	v_add_f32_e32 v57, v30, v53
	v_add_f32_e32 v109, v57, v50
	;; [unrolled: 1-line block ×3, first 2 shown]
	v_fma_f32 v30, -0.5, v50, v30
	v_sub_f32_e32 v50, v91, v92
	v_mov_b32_e32 v53, v30
	v_add_f32_e32 v57, v94, v93
	v_fmac_f32_e32 v53, 0xbf5db3d7, v50
	v_fmac_f32_e32 v30, 0x3f5db3d7, v50
	v_add_f32_e32 v50, v29, v94
	v_fmac_f32_e32 v29, -0.5, v57
	v_sub_f32_e32 v57, v46, v51
	v_mov_b32_e32 v91, v29
	v_fmac_f32_e32 v91, 0x3f5db3d7, v57
	v_fmac_f32_e32 v29, 0xbf5db3d7, v57
	v_add_f32_e32 v57, v31, v46
	v_add_f32_e32 v46, v46, v51
	v_fmac_f32_e32 v31, -0.5, v46
	v_add_f32_e32 v52, v52, v92
	v_add_f32_e32 v92, v57, v51
	v_sub_f32_e32 v46, v94, v93
	v_mov_b32_e32 v51, v31
	v_add_f32_e32 v57, v15, v16
	v_fmac_f32_e32 v51, 0xbf5db3d7, v46
	v_fmac_f32_e32 v31, 0x3f5db3d7, v46
	v_add_f32_e32 v46, v26, v15
	v_fma_f32 v26, -0.5, v57, v26
	v_add_f32_e32 v50, v50, v93
	v_sub_f32_e32 v57, v47, v44
	v_mov_b32_e32 v93, v26
	v_fmac_f32_e32 v93, 0x3f5db3d7, v57
	v_fmac_f32_e32 v26, 0xbf5db3d7, v57
	v_add_f32_e32 v57, v34, v47
	v_add_f32_e32 v94, v57, v44
	v_add_f32_e32 v44, v47, v44
	v_fma_f32 v34, -0.5, v44, v34
	v_add_f32_e32 v46, v46, v16
	v_sub_f32_e32 v15, v15, v16
	v_mov_b32_e32 v16, v34
	v_add_f32_e32 v44, v2, v5
	v_fmac_f32_e32 v16, 0xbf5db3d7, v15
	v_fmac_f32_e32 v34, 0x3f5db3d7, v15
	v_add_f32_e32 v15, v27, v2
	v_fmac_f32_e32 v27, -0.5, v44
	v_sub_f32_e32 v44, v6, v8
	v_mov_b32_e32 v47, v27
	v_fmac_f32_e32 v47, 0x3f5db3d7, v44
	v_fmac_f32_e32 v27, 0xbf5db3d7, v44
	v_add_f32_e32 v44, v35, v6
	v_add_f32_e32 v6, v6, v8
	v_fmac_f32_e32 v35, -0.5, v6
	v_add_f32_e32 v15, v15, v5
	v_sub_f32_e32 v2, v2, v5
	v_mov_b32_e32 v5, v35
	v_add_f32_e32 v6, v3, v11
	v_fmac_f32_e32 v5, 0xbf5db3d7, v2
	v_fmac_f32_e32 v35, 0x3f5db3d7, v2
	v_add_f32_e32 v2, v22, v3
	v_fmac_f32_e32 v22, -0.5, v6
	v_add_f32_e32 v123, v44, v8
	v_sub_f32_e32 v6, v7, v12
	v_mov_b32_e32 v8, v22
	v_fmac_f32_e32 v8, 0x3f5db3d7, v6
	v_fmac_f32_e32 v22, 0xbf5db3d7, v6
	v_add_f32_e32 v6, v4, v7
	v_add_f32_e32 v124, v6, v12
	;; [unrolled: 1-line block ×3, first 2 shown]
	v_fmac_f32_e32 v4, -0.5, v6
	v_add_f32_e32 v2, v2, v11
	v_sub_f32_e32 v3, v3, v11
	v_mov_b32_e32 v11, v4
	v_mov_b32_e32 v6, 2
	v_fmac_f32_e32 v11, 0xbf5db3d7, v3
	v_fmac_f32_e32 v4, 0x3f5db3d7, v3
	v_mul_u32_u24_e32 v3, 0xcc, v21
	v_lshlrev_b32_sdwa v7, v6, v25 dst_sel:DWORD dst_unused:UNUSED_PAD src0_sel:DWORD src1_sel:BYTE_0
	v_add3_u32 v12, 0, v3, v7
	v_mul_u32_u24_e32 v3, 0xcc, v48
	v_lshlrev_b32_sdwa v7, v6, v49 dst_sel:DWORD dst_unused:UNUSED_PAD src0_sel:DWORD src1_sel:BYTE_0
	s_waitcnt lgkmcnt(0)
	; wave barrier
	ds_write2_b32 v12, v13, v40 offset1:17
	ds_write_b32 v12, v14 offset:136
	v_add3_u32 v13, 0, v3, v7
	v_mul_u32_u24_e32 v3, 0xcc, v54
	v_lshlrev_b32_sdwa v7, v6, v55 dst_sel:DWORD dst_unused:UNUSED_PAD src0_sel:DWORD src1_sel:BYTE_0
	v_add_f32_e32 v17, v17, v126
	v_add3_u32 v14, 0, v3, v7
	v_mul_u32_u24_e32 v3, 0xcc, v110
	v_lshlrev_b32_sdwa v7, v6, v111 dst_sel:DWORD dst_unused:UNUSED_PAD src0_sel:DWORD src1_sel:BYTE_0
	ds_write2_b32 v13, v17, v42 offset1:17
	ds_write_b32 v13, v39 offset:136
	v_add3_u32 v17, 0, v3, v7
	v_mul_u32_u24_e32 v3, 0xcc, v112
	v_lshlrev_b32_sdwa v6, v6, v113 dst_sel:DWORD dst_unused:UNUSED_PAD src0_sel:DWORD src1_sel:BYTE_0
	v_add_f32_e32 v41, v41, v131
	v_add_f32_e32 v43, v43, v132
	v_add3_u32 v21, 0, v3, v6
	v_mul_u32_u24_e32 v3, 0xcc, v114
	v_lshlrev_b32_e32 v6, 2, v115
	ds_write2_b32 v14, v41, v45 offset1:17
	ds_write_b32 v14, v36 offset:136
	ds_write2_b32 v17, v43, v95 offset1:17
	ds_write_b32 v17, v37 offset:136
	;; [unrolled: 2-line block ×3, first 2 shown]
	v_add3_u32 v32, 0, v3, v6
	v_mul_u32_u24_e32 v3, 0xcc, v116
	v_lshlrev_b32_e32 v6, 2, v117
	ds_write2_b32 v32, v56, v87 offset1:17
	ds_write_b32 v32, v33 offset:136
	v_add3_u32 v33, 0, v3, v6
	v_mul_u32_u24_e32 v3, 0xcc, v118
	v_lshlrev_b32_e32 v6, 2, v121
	ds_write2_b32 v33, v52, v90 offset1:17
	ds_write_b32 v33, v28 offset:136
	;; [unrolled: 5-line block ×3, first 2 shown]
	v_add3_u32 v29, 0, v3, v6
	v_mul_u32_u24_e32 v3, 0xcc, v120
	v_lshlrev_b32_e32 v6, 2, v127
	v_add3_u32 v36, 0, v3, v6
	v_mul_u32_u24_e32 v3, 0xcc, v128
	v_lshlrev_b32_e32 v6, 2, v129
	ds_write2_b32 v29, v46, v93 offset1:17
	ds_write_b32 v29, v26 offset:136
	ds_write2_b32 v36, v15, v47 offset1:17
	ds_write_b32 v36, v27 offset:136
	v_add3_u32 v15, 0, v3, v6
	ds_write2_b32 v15, v2, v8 offset1:17
	ds_write_b32 v15, v22 offset:136
	s_waitcnt lgkmcnt(0)
	; wave barrier
	s_waitcnt lgkmcnt(0)
	ds_read2_b32 v[6:7], v69 offset1:51
	ds_read2_b32 v[2:3], v69 offset0:102 offset1:153
	ds_read2_b32 v[25:26], v80 offset0:50 offset1:101
	;; [unrolled: 1-line block ×15, first 2 shown]
	ds_read_b32 v131, v69 offset:6528
	s_waitcnt lgkmcnt(0)
	; wave barrier
	s_waitcnt lgkmcnt(0)
	ds_write2_b32 v12, v38, v66 offset1:17
	ds_write_b32 v12, v9 offset:136
	ds_write2_b32 v13, v85, v64 offset1:17
	ds_write_b32 v13, v18 offset:136
	;; [unrolled: 2-line block ×11, first 2 shown]
	v_mul_u32_u24_e32 v4, 10, v70
	v_lshlrev_b32_e32 v4, 3, v4
	v_mul_lo_u16_sdwa v5, v77, s0 dst_sel:DWORD dst_unused:UNUSED_PAD src0_sel:BYTE_0 src1_sel:DWORD
	s_waitcnt lgkmcnt(0)
	; wave barrier
	s_waitcnt lgkmcnt(0)
	global_load_dwordx4 v[12:15], v4, s[8:9] offset:272
	global_load_dwordx4 v[16:19], v4, s[8:9] offset:288
	v_lshrrev_b16_e32 v5, 13, v5
	v_mul_lo_u16_e32 v5, 51, v5
	v_sub_u16_e32 v5, v77, v5
	v_and_b32_e32 v11, 0xff, v5
	v_mul_u32_u24_e32 v5, 10, v11
	v_lshlrev_b32_e32 v24, 3, v5
	global_load_dwordx4 v[20:23], v24, s[8:9] offset:272
	global_load_dwordx4 v[28:31], v4, s[8:9] offset:304
	;; [unrolled: 1-line block ×4, first 2 shown]
	ds_read2_b32 v[8:9], v69 offset1:51
	ds_read2_b32 v[4:5], v69 offset0:102 offset1:153
	ds_read2_b32 v[64:65], v80 offset0:50 offset1:101
	;; [unrolled: 1-line block ×15, first 2 shown]
	ds_read_b32 v132, v69 offset:6528
	global_load_dwordx4 v[50:53], v24, s[8:9] offset:304
	global_load_dwordx4 v[85:88], v24, s[8:9] offset:288
	;; [unrolled: 1-line block ×3, first 2 shown]
	s_mov_b32 s0, 0x3ed4b147
	s_waitcnt vmcnt(8) lgkmcnt(14)
	v_mul_f32_e32 v27, v5, v13
	v_fma_f32 v133, v3, v12, -v27
	v_mul_f32_e32 v134, v3, v13
	v_mul_f32_e32 v3, v64, v15
	v_fma_f32 v135, v25, v14, -v3
	v_mul_f32_e32 v3, v65, v15
	v_fma_f32 v60, v26, v14, -v3
	s_waitcnt lgkmcnt(5)
	v_mul_f32_e32 v3, v89, v13
	v_fma_f32 v137, v48, v12, -v3
	v_mul_f32_e32 v138, v48, v13
	s_waitcnt vmcnt(7)
	v_mul_f32_e32 v3, v67, v17
	s_waitcnt vmcnt(6)
	v_mul_f32_e32 v27, v49, v21
	v_fmac_f32_e32 v138, v89, v12
	v_fma_f32 v48, v41, v16, -v3
	v_mul_f32_e32 v3, v90, v21
	v_fmac_f32_e32 v27, v90, v20
	global_load_dwordx4 v[89:92], v24, s[8:9] offset:320
	v_mul_f32_e32 v61, v26, v15
	v_fma_f32 v26, v49, v20, -v3
	v_mul_f32_e32 v3, v66, v23
	v_fma_f32 v20, v40, v22, -v3
	v_mul_f32_e32 v3, v109, v19
	v_mul_f32_e32 v21, v40, v23
	v_fma_f32 v40, v42, v18, -v3
	v_mul_f32_e32 v3, v110, v19
	v_mul_f32_e32 v139, v42, v19
	v_fma_f32 v49, v43, v18, -v3
	s_waitcnt vmcnt(6)
	v_mul_f32_e32 v3, v112, v29
	v_mul_f32_e32 v136, v25, v15
	v_fmac_f32_e32 v139, v109, v18
	v_fma_f32 v109, v45, v28, -v3
	s_waitcnt lgkmcnt(4)
	v_mul_f32_e32 v3, v123, v17
	v_fmac_f32_e32 v136, v64, v14
	v_mul_f32_e32 v56, v43, v19
	v_fma_f32 v64, v101, v16, -v3
	v_mul_f32_e32 v3, v113, v31
	v_fmac_f32_e32 v56, v110, v18
	v_fma_f32 v110, v46, v30, -v3
	v_mul_f32_e32 v3, v114, v31
	v_fmac_f32_e32 v61, v65, v14
	v_mul_f32_e32 v65, v101, v17
	v_mul_f32_e32 v101, v45, v29
	v_fma_f32 v42, v47, v30, -v3
	s_waitcnt vmcnt(5)
	v_mul_f32_e32 v3, v116, v33
	v_fmac_f32_e32 v101, v112, v28
	v_mul_f32_e32 v112, v46, v31
	v_mul_f32_e32 v43, v47, v31
	v_fma_f32 v31, v55, v32, -v3
	s_waitcnt lgkmcnt(3)
	v_mul_f32_e32 v3, v125, v29
	v_fma_f32 v45, v103, v28, -v3
	v_mul_f32_e32 v3, v117, v35
	v_fma_f32 v47, v57, v34, -v3
	v_mul_f32_e32 v3, v118, v35
	v_mul_f32_e32 v41, v41, v17
	v_fmac_f32_e32 v21, v66, v22
	v_fma_f32 v66, v58, v34, -v3
	s_waitcnt vmcnt(4)
	v_mul_f32_e32 v3, v120, v37
	v_fmac_f32_e32 v41, v67, v16
	v_fmac_f32_e32 v112, v113, v30
	;; [unrolled: 1-line block ×3, first 2 shown]
	v_mul_f32_e32 v30, v55, v33
	v_mul_f32_e32 v55, v57, v35
	;; [unrolled: 1-line block ×3, first 2 shown]
	v_fma_f32 v35, v98, v36, -v3
	s_waitcnt lgkmcnt(2)
	v_mul_f32_e32 v3, v127, v33
	v_fma_f32 v57, v105, v32, -v3
	v_mul_f32_e32 v3, v121, v39
	v_mul_f32_e32 v59, v105, v33
	v_fma_f32 v33, v99, v38, -v3
	v_mul_f32_e32 v3, v122, v39
	v_fmac_f32_e32 v30, v116, v32
	v_fmac_f32_e32 v59, v127, v32
	v_mul_f32_e32 v32, v98, v37
	v_fma_f32 v98, v100, v38, -v3
	s_waitcnt lgkmcnt(1)
	v_mul_f32_e32 v3, v129, v37
	v_fmac_f32_e32 v55, v117, v34
	v_fmac_f32_e32 v67, v118, v34
	v_mul_f32_e32 v34, v99, v39
	v_mul_f32_e32 v99, v100, v39
	v_fma_f32 v100, v107, v36, -v3
	s_waitcnt vmcnt(2)
	v_mul_f32_e32 v3, v124, v86
	v_fma_f32 v22, v102, v85, -v3
	v_mul_f32_e32 v3, v111, v88
	v_fmac_f32_e32 v65, v123, v16
	v_fma_f32 v16, v44, v87, -v3
	v_mul_f32_e32 v3, v126, v51
	v_fmac_f32_e32 v134, v5, v12
	v_fma_f32 v12, v104, v50, -v3
	v_mul_f32_e32 v3, v115, v53
	v_fma_f32 v14, v54, v52, -v3
	v_mul_f32_e32 v46, v103, v29
	v_fmac_f32_e32 v46, v125, v28
	v_fmac_f32_e32 v34, v121, v38
	;; [unrolled: 1-line block ×3, first 2 shown]
	v_add_f32_e32 v5, v8, v134
	v_add_f32_e32 v5, v5, v136
	s_waitcnt vmcnt(0)
	v_mul_f32_e32 v3, v128, v90
	v_fma_f32 v18, v106, v89, -v3
	v_mul_f32_e32 v3, v119, v92
	v_fma_f32 v24, v97, v91, -v3
	;; [unrolled: 2-line block ×3, first 2 shown]
	s_waitcnt lgkmcnt(0)
	v_mul_f32_e32 v3, v132, v96
	v_fma_f32 v38, v131, v95, -v3
	v_add_f32_e32 v3, v6, v133
	v_add_f32_e32 v3, v3, v135
	;; [unrolled: 1-line block ×12, first 2 shown]
	v_fmac_f32_e32 v32, v120, v36
	v_add_f32_e32 v3, v3, v47
	v_add_f32_e32 v5, v5, v55
	v_mul_f32_e32 v103, v107, v37
	v_add_f32_e32 v3, v3, v35
	v_add_f32_e32 v5, v5, v32
	v_fmac_f32_e32 v103, v129, v36
	v_add_f32_e32 v3, v3, v33
	v_add_f32_e32 v5, v5, v34
	;; [unrolled: 1-line block ×4, first 2 shown]
	v_sub_f32_e32 v33, v133, v33
	v_sub_f32_e32 v34, v134, v34
	v_mul_f32_e32 v23, v102, v86
	v_mul_f32_e32 v17, v44, v88
	v_mul_f32_e32 v13, v104, v51
	v_mul_f32_e32 v15, v54, v53
	v_mul_f32_e32 v19, v106, v90
	v_mul_f32_e32 v25, v97, v92
	v_mul_f32_e32 v29, v108, v94
	v_mul_f32_e32 v39, v131, v96
	v_mul_f32_e32 v44, 0xbf0a6770, v34
	v_mul_f32_e32 v51, 0xbf0a6770, v33
	v_mul_f32_e32 v53, 0xbf68dda4, v34
	v_mul_f32_e32 v58, 0xbf68dda4, v33
	v_mul_f32_e32 v86, 0xbf7d64f0, v34
	v_mul_f32_e32 v88, 0xbf7d64f0, v33
	v_mul_f32_e32 v90, 0xbf4178ce, v34
	v_mul_f32_e32 v92, 0xbf4178ce, v33
	v_mul_f32_e32 v34, 0xbe903f40, v34
	v_mul_f32_e32 v33, 0xbe903f40, v33
	v_fmac_f32_e32 v23, v124, v85
	v_fmac_f32_e32 v17, v111, v87
	;; [unrolled: 1-line block ×8, first 2 shown]
	v_fma_f32 v50, v36, s4, -v44
	v_mov_b32_e32 v52, v51
	v_fmac_f32_e32 v44, 0x3f575c64, v36
	v_fma_f32 v54, v36, s0, -v53
	v_mov_b32_e32 v85, v58
	v_fmac_f32_e32 v53, 0x3ed4b147, v36
	;; [unrolled: 3-line block ×5, first 2 shown]
	v_add_f32_e32 v50, v6, v50
	v_fmac_f32_e32 v52, 0x3f575c64, v37
	v_add_f32_e32 v44, v6, v44
	v_fma_f32 v51, v37, s4, -v51
	v_add_f32_e32 v54, v6, v54
	v_fmac_f32_e32 v85, 0x3ed4b147, v37
	v_add_f32_e32 v53, v6, v53
	v_fma_f32 v58, v37, s0, -v58
	;; [unrolled: 4-line block ×5, first 2 shown]
	v_add_f32_e32 v34, v136, v32
	v_sub_f32_e32 v32, v136, v32
	v_add_f32_e32 v52, v8, v52
	v_add_f32_e32 v51, v8, v51
	;; [unrolled: 1-line block ×11, first 2 shown]
	v_mul_f32_e32 v36, 0xbf68dda4, v32
	v_sub_f32_e32 v35, v135, v35
	v_fma_f32 v37, v33, s0, -v36
	v_add_f32_e32 v37, v37, v50
	v_mul_f32_e32 v50, 0xbf68dda4, v35
	v_fmac_f32_e32 v36, 0x3ed4b147, v33
	v_mov_b32_e32 v96, v50
	v_add_f32_e32 v36, v36, v44
	v_fma_f32 v44, v34, s0, -v50
	v_mul_f32_e32 v50, 0xbf4178ce, v32
	v_add_f32_e32 v44, v44, v51
	v_fma_f32 v51, v33, s5, -v50
	v_fmac_f32_e32 v96, 0x3ed4b147, v34
	v_add_f32_e32 v51, v51, v54
	v_mul_f32_e32 v54, 0xbf4178ce, v35
	v_fmac_f32_e32 v50, 0xbf27a4f4, v33
	v_add_f32_e32 v52, v96, v52
	v_mov_b32_e32 v96, v54
	v_add_f32_e32 v50, v50, v53
	v_fma_f32 v53, v34, s5, -v54
	v_mul_f32_e32 v54, 0x3e903f40, v32
	v_add_f32_e32 v53, v53, v58
	v_fma_f32 v58, v33, s6, -v54
	v_fmac_f32_e32 v96, 0xbf27a4f4, v34
	v_add_f32_e32 v58, v58, v87
	v_mul_f32_e32 v87, 0x3e903f40, v35
	v_fmac_f32_e32 v54, 0xbf75a155, v33
	v_add_f32_e32 v85, v96, v85
	v_mov_b32_e32 v96, v87
	v_add_f32_e32 v54, v54, v86
	v_fma_f32 v86, v34, s6, -v87
	v_mul_f32_e32 v87, 0x3f7d64f0, v32
	v_add_f32_e32 v86, v86, v88
	v_fma_f32 v88, v33, s1, -v87
	v_fmac_f32_e32 v96, 0xbf75a155, v34
	v_add_f32_e32 v88, v88, v91
	v_mul_f32_e32 v91, 0x3f7d64f0, v35
	v_fmac_f32_e32 v87, 0xbe11bafb, v33
	v_mul_f32_e32 v32, 0x3f0a6770, v32
	v_add_f32_e32 v89, v96, v89
	v_mov_b32_e32 v96, v91
	v_add_f32_e32 v87, v87, v90
	v_fma_f32 v90, v34, s1, -v91
	v_fma_f32 v91, v33, s4, -v32
	v_mul_f32_e32 v35, 0x3f0a6770, v35
	v_fmac_f32_e32 v32, 0x3f575c64, v33
	v_add_f32_e32 v90, v90, v92
	v_mov_b32_e32 v92, v35
	v_add_f32_e32 v6, v32, v6
	v_fma_f32 v32, v34, s4, -v35
	v_sub_f32_e32 v35, v41, v55
	v_add_f32_e32 v8, v32, v8
	v_add_f32_e32 v32, v48, v47
	;; [unrolled: 1-line block ×3, first 2 shown]
	v_mul_f32_e32 v41, 0xbf7d64f0, v35
	v_fmac_f32_e32 v96, 0xbe11bafb, v34
	v_fmac_f32_e32 v92, 0x3f575c64, v34
	v_sub_f32_e32 v34, v48, v47
	v_fma_f32 v47, v32, s1, -v41
	v_add_f32_e32 v37, v47, v37
	v_mul_f32_e32 v47, 0xbf7d64f0, v34
	v_fmac_f32_e32 v41, 0xbe11bafb, v32
	v_add_f32_e32 v36, v41, v36
	v_fma_f32 v41, v33, s1, -v47
	v_add_f32_e32 v41, v41, v44
	v_mul_f32_e32 v44, 0x3e903f40, v35
	v_mov_b32_e32 v48, v47
	v_fma_f32 v47, v32, s6, -v44
	v_fmac_f32_e32 v48, 0xbe11bafb, v33
	v_add_f32_e32 v47, v47, v51
	v_mul_f32_e32 v51, 0x3e903f40, v34
	v_fmac_f32_e32 v44, 0xbf75a155, v32
	v_add_f32_e32 v48, v48, v52
	v_mov_b32_e32 v52, v51
	v_add_f32_e32 v44, v44, v50
	v_fma_f32 v50, v33, s6, -v51
	v_mul_f32_e32 v51, 0x3f68dda4, v35
	v_add_f32_e32 v50, v50, v53
	v_fma_f32 v53, v32, s0, -v51
	v_mul_f32_e32 v55, 0x3f68dda4, v34
	v_fmac_f32_e32 v51, 0x3ed4b147, v32
	v_fmac_f32_e32 v52, 0xbf75a155, v33
	v_add_f32_e32 v53, v53, v58
	v_mov_b32_e32 v58, v55
	v_add_f32_e32 v51, v51, v54
	v_fma_f32 v54, v33, s0, -v55
	v_mul_f32_e32 v55, 0xbf0a6770, v35
	v_add_f32_e32 v52, v52, v85
	v_fmac_f32_e32 v58, 0x3ed4b147, v33
	v_add_f32_e32 v54, v54, v86
	v_fma_f32 v85, v32, s4, -v55
	v_mul_f32_e32 v86, 0xbf0a6770, v34
	v_mul_f32_e32 v34, 0xbf4178ce, v34
	v_add_f32_e32 v58, v58, v89
	v_add_f32_e32 v85, v85, v88
	v_mov_b32_e32 v88, v86
	v_fmac_f32_e32 v55, 0x3f575c64, v32
	v_mul_f32_e32 v35, 0xbf4178ce, v35
	v_mov_b32_e32 v89, v34
	v_fmac_f32_e32 v88, 0x3f575c64, v33
	v_add_f32_e32 v55, v55, v87
	v_fma_f32 v86, v33, s4, -v86
	v_fma_f32 v87, v32, s5, -v35
	v_fmac_f32_e32 v89, 0xbf27a4f4, v33
	v_fmac_f32_e32 v35, 0xbf27a4f4, v32
	v_fma_f32 v32, v33, s5, -v34
	v_add_f32_e32 v33, v139, v30
	v_sub_f32_e32 v30, v139, v30
	v_add_f32_e32 v8, v32, v8
	v_add_f32_e32 v32, v40, v31
	v_mul_f32_e32 v34, 0xbf4178ce, v30
	v_add_f32_e32 v6, v35, v6
	v_sub_f32_e32 v31, v40, v31
	v_fma_f32 v35, v32, s5, -v34
	v_add_f32_e32 v35, v35, v37
	v_mul_f32_e32 v37, 0xbf4178ce, v31
	v_fmac_f32_e32 v34, 0xbf27a4f4, v32
	v_mov_b32_e32 v40, v37
	v_add_f32_e32 v34, v34, v36
	v_fma_f32 v36, v33, s5, -v37
	v_mul_f32_e32 v37, 0x3f7d64f0, v30
	v_add_f32_e32 v36, v36, v41
	v_fma_f32 v41, v32, s1, -v37
	v_fmac_f32_e32 v40, 0xbf27a4f4, v33
	v_add_f32_e32 v41, v41, v47
	v_mul_f32_e32 v47, 0x3f7d64f0, v31
	v_add_f32_e32 v40, v40, v48
	v_mov_b32_e32 v48, v47
	v_fmac_f32_e32 v37, 0xbe11bafb, v32
	v_fmac_f32_e32 v48, 0xbe11bafb, v33
	v_add_f32_e32 v37, v37, v44
	v_fma_f32 v44, v33, s1, -v47
	v_mul_f32_e32 v47, 0xbf0a6770, v30
	v_add_f32_e32 v48, v48, v52
	v_add_f32_e32 v44, v44, v50
	v_fma_f32 v50, v32, s4, -v47
	v_mul_f32_e32 v52, 0xbf0a6770, v31
	v_add_f32_e32 v50, v50, v53
	v_mov_b32_e32 v53, v52
	v_fmac_f32_e32 v47, 0x3f575c64, v32
	v_fmac_f32_e32 v53, 0x3f575c64, v33
	v_add_f32_e32 v47, v47, v51
	v_fma_f32 v51, v33, s4, -v52
	v_mul_f32_e32 v52, 0xbe903f40, v30
	v_add_f32_e32 v53, v53, v58
	v_add_f32_e32 v51, v51, v54
	v_fma_f32 v54, v32, s6, -v52
	v_mul_f32_e32 v58, 0xbe903f40, v31
	v_fmac_f32_e32 v52, 0xbf75a155, v32
	v_add_f32_e32 v91, v91, v94
	v_add_f32_e32 v86, v86, v90
	;; [unrolled: 1-line block ×3, first 2 shown]
	v_fma_f32 v52, v33, s6, -v58
	v_mul_f32_e32 v30, 0x3f68dda4, v30
	v_add_f32_e32 v93, v96, v93
	v_add_f32_e32 v87, v87, v91
	;; [unrolled: 1-line block ×3, first 2 shown]
	v_mov_b32_e32 v85, v58
	v_add_f32_e32 v58, v52, v86
	v_fma_f32 v52, v32, s0, -v30
	v_mul_f32_e32 v31, 0x3f68dda4, v31
	v_add_f32_e32 v92, v92, v95
	v_add_f32_e32 v88, v88, v93
	v_fmac_f32_e32 v85, 0xbf75a155, v33
	v_add_f32_e32 v86, v52, v87
	v_mov_b32_e32 v52, v31
	v_fmac_f32_e32 v30, 0x3ed4b147, v32
	v_add_f32_e32 v89, v89, v92
	v_add_f32_e32 v85, v85, v88
	v_fmac_f32_e32 v52, 0x3ed4b147, v33
	v_add_f32_e32 v88, v30, v6
	v_fma_f32 v6, v33, s0, -v31
	v_sub_f32_e32 v93, v101, v112
	v_add_f32_e32 v87, v52, v89
	v_add_f32_e32 v89, v6, v8
	;; [unrolled: 1-line block ×3, first 2 shown]
	v_sub_f32_e32 v92, v109, v110
	v_mul_f32_e32 v8, 0xbe903f40, v93
	v_fma_f32 v6, v90, s6, -v8
	v_mul_f32_e32 v32, 0xbe903f40, v92
	v_fmac_f32_e32 v8, 0xbf75a155, v90
	v_add_f32_e32 v91, v101, v112
	v_add_f32_e32 v30, v6, v35
	v_mov_b32_e32 v6, v32
	v_add_f32_e32 v31, v8, v34
	v_mul_f32_e32 v34, 0x3f0a6770, v92
	v_fmac_f32_e32 v6, 0xbf75a155, v91
	v_mul_f32_e32 v33, 0x3f0a6770, v93
	v_mov_b32_e32 v35, v34
	v_add_f32_e32 v6, v6, v40
	v_fma_f32 v8, v91, s6, -v32
	v_fma_f32 v32, v90, s4, -v33
	v_fmac_f32_e32 v35, 0x3f575c64, v91
	v_mul_f32_e32 v40, 0xbf4178ce, v92
	v_add_f32_e32 v8, v8, v36
	v_add_f32_e32 v32, v32, v41
	;; [unrolled: 1-line block ×3, first 2 shown]
	v_fmac_f32_e32 v33, 0x3f575c64, v90
	v_fma_f32 v34, v91, s4, -v34
	v_mul_f32_e32 v35, 0xbf4178ce, v93
	v_mov_b32_e32 v41, v40
	v_add_f32_e32 v33, v33, v37
	v_add_f32_e32 v37, v34, v44
	v_fma_f32 v34, v90, s5, -v35
	v_fmac_f32_e32 v41, 0xbf27a4f4, v91
	v_fmac_f32_e32 v35, 0xbf27a4f4, v90
	v_mul_f32_e32 v44, 0x3f68dda4, v92
	v_add_f32_e32 v34, v34, v50
	v_add_f32_e32 v50, v41, v53
	;; [unrolled: 1-line block ×3, first 2 shown]
	v_fma_f32 v40, v91, s5, -v40
	v_mul_f32_e32 v41, 0x3f68dda4, v93
	v_mov_b32_e32 v47, v44
	v_fma_f32 v44, v91, s0, -v44
	v_add_f32_e32 v51, v40, v51
	v_fma_f32 v40, v90, s0, -v41
	v_add_f32_e32 v53, v44, v58
	v_mul_f32_e32 v48, 0xbf7d64f0, v92
	v_add_f32_e32 v58, v9, v138
	v_add_f32_e32 v40, v40, v54
	v_fmac_f32_e32 v41, 0x3ed4b147, v90
	v_mov_b32_e32 v54, v48
	v_fma_f32 v48, v91, s1, -v48
	v_add_f32_e32 v58, v58, v61
	v_add_f32_e32 v41, v41, v55
	;; [unrolled: 1-line block ×11, first 2 shown]
	v_fmac_f32_e32 v47, 0x3ed4b147, v91
	v_add_f32_e32 v48, v48, v45
	v_add_f32_e32 v58, v58, v59
	;; [unrolled: 1-line block ×3, first 2 shown]
	v_mul_f32_e32 v47, 0xbf7d64f0, v93
	v_fmac_f32_e32 v54, 0xbe11bafb, v91
	v_add_f32_e32 v48, v48, v42
	v_add_f32_e32 v58, v58, v67
	v_fma_f32 v44, v90, s1, -v47
	v_add_f32_e32 v54, v54, v87
	v_fmac_f32_e32 v47, 0xbe11bafb, v90
	v_add_f32_e32 v48, v48, v57
	v_add_f32_e32 v58, v58, v103
	v_sub_f32_e32 v87, v137, v98
	v_add_f32_e32 v44, v44, v86
	v_add_f32_e32 v47, v47, v88
	;; [unrolled: 1-line block ×5, first 2 shown]
	v_sub_f32_e32 v88, v138, v99
	v_mul_f32_e32 v91, 0xbf0a6770, v87
	v_mul_f32_e32 v95, 0xbf68dda4, v87
	;; [unrolled: 1-line block ×5, first 2 shown]
	v_add_f32_e32 v48, v48, v100
	v_add_f32_e32 v85, v137, v98
	v_mul_f32_e32 v89, 0xbf0a6770, v88
	v_mov_b32_e32 v92, v91
	v_mul_f32_e32 v93, 0xbf68dda4, v88
	v_mov_b32_e32 v96, v95
	;; [unrolled: 2-line block ×5, first 2 shown]
	v_add_f32_e32 v48, v48, v98
	v_fma_f32 v90, v85, s4, -v89
	v_fmac_f32_e32 v92, 0x3f575c64, v86
	v_fmac_f32_e32 v89, 0x3f575c64, v85
	v_fma_f32 v91, v86, s4, -v91
	v_fma_f32 v94, v85, s0, -v93
	v_fmac_f32_e32 v96, 0x3ed4b147, v86
	v_fmac_f32_e32 v93, 0x3ed4b147, v85
	v_fma_f32 v95, v86, s0, -v95
	;; [unrolled: 4-line block ×5, first 2 shown]
	v_add_f32_e32 v86, v61, v103
	v_sub_f32_e32 v61, v61, v103
	v_add_f32_e32 v92, v9, v92
	v_add_f32_e32 v91, v9, v91
	;; [unrolled: 1-line block ×11, first 2 shown]
	v_mul_f32_e32 v87, 0xbf68dda4, v61
	v_add_f32_e32 v90, v7, v90
	v_add_f32_e32 v89, v7, v89
	v_add_f32_e32 v94, v7, v94
	v_add_f32_e32 v93, v7, v93
	v_add_f32_e32 v98, v7, v98
	v_add_f32_e32 v97, v7, v97
	v_add_f32_e32 v104, v7, v104
	v_add_f32_e32 v102, v7, v102
	v_add_f32_e32 v107, v7, v107
	v_add_f32_e32 v7, v7, v88
	v_sub_f32_e32 v60, v60, v100
	v_fma_f32 v88, v85, s0, -v87
	v_add_f32_e32 v88, v88, v90
	v_mul_f32_e32 v90, 0xbf68dda4, v60
	v_fmac_f32_e32 v87, 0x3ed4b147, v85
	v_mov_b32_e32 v100, v90
	v_add_f32_e32 v87, v87, v89
	v_fma_f32 v89, v86, s0, -v90
	v_mul_f32_e32 v90, 0xbf4178ce, v61
	v_add_f32_e32 v89, v89, v91
	v_fma_f32 v91, v85, s5, -v90
	v_fmac_f32_e32 v100, 0x3ed4b147, v86
	v_add_f32_e32 v91, v91, v94
	v_mul_f32_e32 v94, 0xbf4178ce, v60
	v_fmac_f32_e32 v90, 0xbf27a4f4, v85
	v_add_f32_e32 v92, v100, v92
	v_mov_b32_e32 v100, v94
	v_add_f32_e32 v90, v90, v93
	v_fma_f32 v93, v86, s5, -v94
	v_mul_f32_e32 v94, 0x3e903f40, v61
	v_add_f32_e32 v93, v93, v95
	v_fma_f32 v95, v85, s6, -v94
	v_fmac_f32_e32 v100, 0xbf27a4f4, v86
	v_add_f32_e32 v95, v95, v98
	v_mul_f32_e32 v98, 0x3e903f40, v60
	v_fmac_f32_e32 v94, 0xbf75a155, v85
	v_add_f32_e32 v96, v100, v96
	v_mov_b32_e32 v100, v98
	v_add_f32_e32 v94, v94, v97
	v_fma_f32 v97, v86, s6, -v98
	v_mul_f32_e32 v98, 0x3f7d64f0, v61
	v_fmac_f32_e32 v100, 0xbf75a155, v86
	v_add_f32_e32 v97, v97, v99
	v_fma_f32 v99, v85, s1, -v98
	v_fmac_f32_e32 v98, 0xbe11bafb, v85
	v_mul_f32_e32 v61, 0x3f0a6770, v61
	v_add_f32_e32 v100, v100, v101
	v_mul_f32_e32 v101, 0x3f7d64f0, v60
	v_add_f32_e32 v98, v98, v102
	v_fma_f32 v102, v85, s4, -v61
	v_mul_f32_e32 v60, 0x3f0a6770, v60
	v_fmac_f32_e32 v61, 0x3f575c64, v85
	v_add_f32_e32 v99, v99, v104
	v_mov_b32_e32 v104, v60
	v_add_f32_e32 v7, v61, v7
	v_fma_f32 v60, v86, s4, -v60
	v_add_f32_e32 v61, v65, v67
	v_sub_f32_e32 v65, v65, v67
	v_add_f32_e32 v9, v60, v9
	v_add_f32_e32 v60, v64, v66
	v_sub_f32_e32 v64, v64, v66
	v_mul_f32_e32 v66, 0xbf7d64f0, v65
	v_mov_b32_e32 v103, v101
	v_fma_f32 v67, v60, s1, -v66
	v_mul_f32_e32 v85, 0xbf7d64f0, v64
	v_fmac_f32_e32 v66, 0xbe11bafb, v60
	v_fmac_f32_e32 v103, 0xbe11bafb, v86
	v_fma_f32 v101, v86, s1, -v101
	v_fmac_f32_e32 v104, 0x3f575c64, v86
	v_mov_b32_e32 v86, v85
	v_add_f32_e32 v66, v66, v87
	v_fma_f32 v85, v61, s1, -v85
	v_mul_f32_e32 v87, 0x3e903f40, v65
	v_add_f32_e32 v67, v67, v88
	v_add_f32_e32 v85, v85, v89
	v_fma_f32 v88, v60, s6, -v87
	v_mul_f32_e32 v89, 0x3e903f40, v64
	v_fmac_f32_e32 v87, 0xbf75a155, v60
	v_fmac_f32_e32 v86, 0xbe11bafb, v61
	v_add_f32_e32 v88, v88, v91
	v_mov_b32_e32 v91, v89
	v_add_f32_e32 v87, v87, v90
	v_fma_f32 v89, v61, s6, -v89
	v_mul_f32_e32 v90, 0x3f68dda4, v65
	v_add_f32_e32 v86, v86, v92
	v_add_f32_e32 v89, v89, v93
	v_fma_f32 v92, v60, s0, -v90
	v_mul_f32_e32 v93, 0x3f68dda4, v64
	v_fmac_f32_e32 v90, 0x3ed4b147, v60
	v_fmac_f32_e32 v91, 0xbf75a155, v61
	v_add_f32_e32 v92, v92, v95
	v_mov_b32_e32 v95, v93
	v_add_f32_e32 v90, v90, v94
	v_fma_f32 v93, v61, s0, -v93
	v_mul_f32_e32 v94, 0xbf0a6770, v65
	v_add_f32_e32 v91, v91, v96
	v_fmac_f32_e32 v95, 0x3ed4b147, v61
	v_add_f32_e32 v93, v93, v97
	v_fma_f32 v96, v60, s4, -v94
	v_mul_f32_e32 v97, 0xbf0a6770, v64
	v_mul_f32_e32 v64, 0xbf4178ce, v64
	v_add_f32_e32 v95, v95, v100
	v_add_f32_e32 v96, v96, v99
	v_mov_b32_e32 v99, v97
	v_fmac_f32_e32 v94, 0x3f575c64, v60
	v_mul_f32_e32 v65, 0xbf4178ce, v65
	v_mov_b32_e32 v100, v64
	v_fmac_f32_e32 v99, 0x3f575c64, v61
	v_add_f32_e32 v94, v94, v98
	v_fma_f32 v97, v61, s4, -v97
	v_fma_f32 v98, v60, s5, -v65
	v_fmac_f32_e32 v100, 0xbf27a4f4, v61
	v_fmac_f32_e32 v65, 0xbf27a4f4, v60
	v_fma_f32 v60, v61, s5, -v64
	v_add_f32_e32 v61, v56, v59
	v_sub_f32_e32 v56, v56, v59
	v_add_f32_e32 v9, v60, v9
	v_add_f32_e32 v60, v49, v57
	v_sub_f32_e32 v49, v49, v57
	v_mul_f32_e32 v57, 0xbf4178ce, v56
	v_fma_f32 v59, v60, s5, -v57
	v_fmac_f32_e32 v57, 0xbf27a4f4, v60
	v_mul_f32_e32 v64, 0xbf4178ce, v49
	v_add_f32_e32 v57, v57, v66
	v_mul_f32_e32 v66, 0x3f7d64f0, v56
	v_add_f32_e32 v7, v65, v7
	v_add_f32_e32 v59, v59, v67
	v_mov_b32_e32 v65, v64
	v_fma_f32 v64, v61, s5, -v64
	v_fma_f32 v67, v60, s1, -v66
	v_fmac_f32_e32 v66, 0xbe11bafb, v60
	v_fmac_f32_e32 v65, 0xbf27a4f4, v61
	v_add_f32_e32 v64, v64, v85
	v_mul_f32_e32 v85, 0x3f7d64f0, v49
	v_add_f32_e32 v66, v66, v87
	v_mul_f32_e32 v87, 0xbf0a6770, v56
	v_add_f32_e32 v65, v65, v86
	v_add_f32_e32 v67, v67, v88
	v_mov_b32_e32 v86, v85
	v_fma_f32 v85, v61, s1, -v85
	v_fma_f32 v88, v60, s4, -v87
	v_fmac_f32_e32 v87, 0x3f575c64, v60
	v_fmac_f32_e32 v86, 0xbe11bafb, v61
	v_add_f32_e32 v85, v85, v89
	v_mul_f32_e32 v89, 0xbf0a6770, v49
	v_add_f32_e32 v87, v87, v90
	v_mul_f32_e32 v90, 0xbe903f40, v56
	v_add_f32_e32 v86, v86, v91
	v_add_f32_e32 v88, v88, v92
	v_mov_b32_e32 v91, v89
	v_fma_f32 v89, v61, s4, -v89
	v_fma_f32 v92, v60, s6, -v90
	v_fmac_f32_e32 v90, 0xbf75a155, v60
	v_mul_f32_e32 v56, 0x3f68dda4, v56
	v_add_f32_e32 v89, v89, v93
	v_mul_f32_e32 v93, 0xbe903f40, v49
	v_add_f32_e32 v90, v90, v94
	v_fma_f32 v94, v60, s0, -v56
	v_mul_f32_e32 v49, 0x3f68dda4, v49
	v_fmac_f32_e32 v56, 0x3ed4b147, v60
	v_add_f32_e32 v92, v92, v96
	v_mov_b32_e32 v96, v49
	v_add_f32_e32 v7, v56, v7
	v_fma_f32 v49, v61, s0, -v49
	v_add_f32_e32 v56, v46, v43
	v_sub_f32_e32 v43, v46, v43
	v_add_f32_e32 v9, v49, v9
	v_add_f32_e32 v49, v45, v42
	v_sub_f32_e32 v42, v45, v42
	v_mul_f32_e32 v45, 0xbe903f40, v43
	v_fma_f32 v46, v49, s6, -v45
	v_add_f32_e32 v46, v46, v59
	v_mul_f32_e32 v59, 0xbe903f40, v42
	v_fmac_f32_e32 v45, 0xbf75a155, v49
	v_fmac_f32_e32 v91, 0x3f575c64, v61
	v_add_f32_e32 v45, v45, v57
	v_fma_f32 v57, v56, s6, -v59
	v_add_f32_e32 v91, v91, v95
	v_mov_b32_e32 v95, v93
	v_mov_b32_e32 v60, v59
	v_add_f32_e32 v59, v57, v64
	v_mul_f32_e32 v57, 0x3f0a6770, v43
	v_fmac_f32_e32 v95, 0xbf75a155, v61
	v_fma_f32 v93, v61, s6, -v93
	v_fmac_f32_e32 v96, 0x3ed4b147, v61
	v_fma_f32 v61, v49, s4, -v57
	v_fmac_f32_e32 v57, 0x3f575c64, v49
	v_fmac_f32_e32 v60, 0xbf75a155, v56
	v_mul_f32_e32 v64, 0x3f0a6770, v42
	v_add_f32_e32 v57, v57, v66
	v_mul_f32_e32 v66, 0xbf4178ce, v43
	v_add_f32_e32 v60, v60, v65
	v_add_f32_e32 v61, v61, v67
	v_mov_b32_e32 v65, v64
	v_fma_f32 v64, v56, s4, -v64
	v_fma_f32 v67, v49, s5, -v66
	v_fmac_f32_e32 v66, 0xbf27a4f4, v49
	v_fmac_f32_e32 v65, 0x3f575c64, v56
	v_add_f32_e32 v64, v64, v85
	v_mul_f32_e32 v85, 0xbf4178ce, v42
	v_add_f32_e32 v66, v66, v87
	v_mul_f32_e32 v87, 0x3f68dda4, v43
	v_add_f32_e32 v65, v65, v86
	v_add_f32_e32 v67, v67, v88
	v_mov_b32_e32 v86, v85
	v_fma_f32 v85, v56, s5, -v85
	v_fma_f32 v88, v49, s0, -v87
	v_fmac_f32_e32 v87, 0x3ed4b147, v49
	v_mul_f32_e32 v43, 0xbf7d64f0, v43
	v_add_f32_e32 v85, v85, v89
	v_mul_f32_e32 v89, 0x3f68dda4, v42
	v_add_f32_e32 v87, v87, v90
	v_fma_f32 v90, v49, s1, -v43
	v_mul_f32_e32 v42, 0xbf7d64f0, v42
	v_fmac_f32_e32 v43, 0xbe11bafb, v49
	v_add_f32_e32 v88, v88, v92
	v_mov_b32_e32 v92, v42
	v_add_f32_e32 v7, v43, v7
	v_fma_f32 v42, v56, s1, -v42
	v_add_f32_e32 v43, v4, v27
	v_add_f32_e32 v9, v42, v9
	;; [unrolled: 1-line block ×17, first 2 shown]
	v_fmac_f32_e32 v86, 0xbf27a4f4, v56
	v_add_f32_e32 v42, v42, v18
	v_add_f32_e32 v43, v43, v25
	;; [unrolled: 1-line block ×7, first 2 shown]
	v_mov_b32_e32 v91, v89
	v_fma_f32 v89, v56, s0, -v89
	v_add_f32_e32 v42, v42, v24
	v_add_f32_e32 v43, v43, v29
	;; [unrolled: 1-line block ×5, first 2 shown]
	v_fmac_f32_e32 v91, 0x3ed4b147, v56
	v_add_f32_e32 v89, v89, v93
	v_add_f32_e32 v42, v42, v28
	;; [unrolled: 1-line block ×5, first 2 shown]
	v_sub_f32_e32 v26, v26, v38
	v_sub_f32_e32 v27, v27, v39
	v_add_f32_e32 v94, v94, v98
	v_add_f32_e32 v96, v96, v100
	v_add_f32_e32 v91, v91, v95
	v_fmac_f32_e32 v92, 0xbe11bafb, v56
	v_add_f32_e32 v42, v42, v38
	v_mul_f32_e32 v38, 0xbf0a6770, v27
	v_mul_f32_e32 v56, 0xbf0a6770, v26
	;; [unrolled: 1-line block ×10, first 2 shown]
	v_add_f32_e32 v90, v90, v94
	v_add_f32_e32 v92, v92, v96
	v_fma_f32 v39, v43, s4, -v38
	v_mov_b32_e32 v94, v56
	v_fmac_f32_e32 v38, 0x3f575c64, v43
	v_fma_f32 v96, v43, s0, -v95
	v_mov_b32_e32 v98, v97
	v_fmac_f32_e32 v95, 0x3ed4b147, v43
	;; [unrolled: 3-line block ×5, first 2 shown]
	v_add_f32_e32 v39, v2, v39
	v_fmac_f32_e32 v94, 0x3f575c64, v49
	v_add_f32_e32 v38, v2, v38
	v_fma_f32 v56, v49, s4, -v56
	v_add_f32_e32 v96, v2, v96
	v_fmac_f32_e32 v98, 0x3ed4b147, v49
	v_add_f32_e32 v95, v2, v95
	v_fma_f32 v97, v49, s0, -v97
	;; [unrolled: 4-line block ×5, first 2 shown]
	v_add_f32_e32 v27, v21, v29
	v_sub_f32_e32 v21, v21, v29
	v_add_f32_e32 v94, v4, v94
	v_add_f32_e32 v56, v4, v56
	;; [unrolled: 1-line block ×11, first 2 shown]
	v_sub_f32_e32 v20, v20, v28
	v_mul_f32_e32 v28, 0xbf68dda4, v21
	v_fma_f32 v29, v26, s0, -v28
	v_add_f32_e32 v29, v29, v39
	v_mul_f32_e32 v39, 0xbf68dda4, v20
	v_fmac_f32_e32 v28, 0x3ed4b147, v26
	v_mov_b32_e32 v43, v39
	v_add_f32_e32 v28, v28, v38
	v_fma_f32 v38, v27, s0, -v39
	v_mul_f32_e32 v39, 0xbf4178ce, v21
	v_fma_f32 v49, v26, s5, -v39
	v_fmac_f32_e32 v39, 0xbf27a4f4, v26
	v_fmac_f32_e32 v43, 0x3ed4b147, v27
	v_add_f32_e32 v38, v38, v56
	v_mul_f32_e32 v56, 0xbf4178ce, v20
	v_add_f32_e32 v39, v39, v95
	v_mul_f32_e32 v95, 0x3e903f40, v21
	v_add_f32_e32 v43, v43, v94
	v_add_f32_e32 v49, v49, v96
	v_mov_b32_e32 v94, v56
	v_fma_f32 v56, v27, s5, -v56
	v_fma_f32 v96, v26, s6, -v95
	v_fmac_f32_e32 v95, 0xbf75a155, v26
	v_fmac_f32_e32 v94, 0xbf27a4f4, v27
	v_add_f32_e32 v56, v56, v97
	v_mul_f32_e32 v97, 0x3e903f40, v20
	v_add_f32_e32 v95, v95, v99
	v_mul_f32_e32 v99, 0x3f7d64f0, v21
	v_add_f32_e32 v94, v94, v98
	v_add_f32_e32 v96, v96, v100
	v_mov_b32_e32 v98, v97
	v_fma_f32 v97, v27, s6, -v97
	v_fma_f32 v100, v26, s1, -v99
	v_fmac_f32_e32 v99, 0xbe11bafb, v26
	v_mul_f32_e32 v21, 0x3f0a6770, v21
	v_add_f32_e32 v97, v97, v101
	v_mul_f32_e32 v101, 0x3f7d64f0, v20
	v_add_f32_e32 v99, v99, v103
	v_fma_f32 v103, v26, s4, -v21
	v_mul_f32_e32 v20, 0x3f0a6770, v20
	v_fmac_f32_e32 v21, 0x3f575c64, v26
	v_add_f32_e32 v100, v100, v104
	v_mov_b32_e32 v104, v20
	v_add_f32_e32 v2, v21, v2
	v_fma_f32 v20, v27, s4, -v20
	v_add_f32_e32 v21, v23, v25
	v_sub_f32_e32 v23, v23, v25
	v_fmac_f32_e32 v98, 0xbf75a155, v27
	v_add_f32_e32 v4, v20, v4
	v_add_f32_e32 v20, v22, v24
	v_sub_f32_e32 v22, v22, v24
	v_mul_f32_e32 v24, 0xbf7d64f0, v23
	v_add_f32_e32 v98, v98, v102
	v_mov_b32_e32 v102, v101
	v_fma_f32 v25, v20, s1, -v24
	v_mul_f32_e32 v26, 0xbf7d64f0, v22
	v_fmac_f32_e32 v24, 0xbe11bafb, v20
	v_fmac_f32_e32 v102, 0xbe11bafb, v27
	v_fma_f32 v101, v27, s1, -v101
	v_fmac_f32_e32 v104, 0x3f575c64, v27
	v_mov_b32_e32 v27, v26
	v_add_f32_e32 v24, v24, v28
	v_fma_f32 v26, v21, s1, -v26
	v_mul_f32_e32 v28, 0x3e903f40, v23
	v_add_f32_e32 v25, v25, v29
	v_fmac_f32_e32 v27, 0xbe11bafb, v21
	v_add_f32_e32 v26, v26, v38
	v_fma_f32 v29, v20, s6, -v28
	v_mul_f32_e32 v38, 0x3e903f40, v22
	v_fmac_f32_e32 v28, 0xbf75a155, v20
	v_add_f32_e32 v27, v27, v43
	v_mov_b32_e32 v43, v38
	v_add_f32_e32 v28, v28, v39
	v_fma_f32 v38, v21, s6, -v38
	v_mul_f32_e32 v39, 0x3f68dda4, v23
	v_add_f32_e32 v29, v29, v49
	v_fmac_f32_e32 v43, 0xbf75a155, v21
	v_add_f32_e32 v38, v38, v56
	v_fma_f32 v49, v20, s0, -v39
	v_mul_f32_e32 v56, 0x3f68dda4, v22
	v_fmac_f32_e32 v39, 0x3ed4b147, v20
	v_add_f32_e32 v43, v43, v94
	v_mov_b32_e32 v94, v56
	v_add_f32_e32 v39, v39, v95
	v_fma_f32 v56, v21, s0, -v56
	v_mul_f32_e32 v95, 0xbf0a6770, v23
	v_add_f32_e32 v49, v49, v96
	v_fmac_f32_e32 v94, 0x3ed4b147, v21
	v_add_f32_e32 v56, v56, v97
	v_fma_f32 v96, v20, s4, -v95
	v_mul_f32_e32 v97, 0xbf0a6770, v22
	v_mul_f32_e32 v22, 0xbf4178ce, v22
	v_add_f32_e32 v94, v94, v98
	v_add_f32_e32 v96, v96, v100
	v_mov_b32_e32 v98, v97
	v_fmac_f32_e32 v95, 0x3f575c64, v20
	v_mul_f32_e32 v23, 0xbf4178ce, v23
	v_mov_b32_e32 v100, v22
	v_fmac_f32_e32 v98, 0x3f575c64, v21
	v_add_f32_e32 v95, v95, v99
	v_fma_f32 v97, v21, s4, -v97
	v_fma_f32 v99, v20, s5, -v23
	v_fmac_f32_e32 v100, 0xbf27a4f4, v21
	v_fmac_f32_e32 v23, 0xbf27a4f4, v20
	v_fma_f32 v20, v21, s5, -v22
	v_add_f32_e32 v21, v17, v19
	v_sub_f32_e32 v17, v17, v19
	v_add_f32_e32 v4, v20, v4
	v_add_f32_e32 v20, v16, v18
	v_sub_f32_e32 v16, v16, v18
	v_mul_f32_e32 v18, 0xbf4178ce, v17
	v_fma_f32 v19, v20, s5, -v18
	v_fmac_f32_e32 v18, 0xbf27a4f4, v20
	v_mul_f32_e32 v22, 0xbf4178ce, v16
	v_add_f32_e32 v18, v18, v24
	v_mul_f32_e32 v24, 0x3f7d64f0, v17
	v_add_f32_e32 v2, v23, v2
	v_add_f32_e32 v19, v19, v25
	v_mov_b32_e32 v23, v22
	v_fma_f32 v22, v21, s5, -v22
	v_fma_f32 v25, v20, s1, -v24
	v_fmac_f32_e32 v24, 0xbe11bafb, v20
	v_fmac_f32_e32 v23, 0xbf27a4f4, v21
	v_add_f32_e32 v22, v22, v26
	v_mul_f32_e32 v26, 0x3f7d64f0, v16
	v_add_f32_e32 v24, v24, v28
	v_mul_f32_e32 v28, 0xbf0a6770, v17
	v_add_f32_e32 v23, v23, v27
	v_add_f32_e32 v25, v25, v29
	v_mov_b32_e32 v27, v26
	v_fma_f32 v26, v21, s1, -v26
	v_fma_f32 v29, v20, s4, -v28
	v_fmac_f32_e32 v28, 0x3f575c64, v20
	v_fmac_f32_e32 v27, 0xbe11bafb, v21
	v_add_f32_e32 v26, v26, v38
	v_mul_f32_e32 v38, 0xbf0a6770, v16
	v_add_f32_e32 v28, v28, v39
	v_mul_f32_e32 v39, 0xbe903f40, v17
	v_add_f32_e32 v27, v27, v43
	v_add_f32_e32 v29, v29, v49
	v_mov_b32_e32 v43, v38
	v_fma_f32 v38, v21, s4, -v38
	v_fma_f32 v49, v20, s6, -v39
	v_fmac_f32_e32 v39, 0xbf75a155, v20
	v_mul_f32_e32 v17, 0x3f68dda4, v17
	v_add_f32_e32 v38, v38, v56
	v_mul_f32_e32 v56, 0xbe903f40, v16
	v_add_f32_e32 v39, v39, v95
	v_fma_f32 v95, v20, s0, -v17
	v_mul_f32_e32 v16, 0x3f68dda4, v16
	v_fmac_f32_e32 v17, 0x3ed4b147, v20
	v_add_f32_e32 v49, v49, v96
	v_mov_b32_e32 v96, v16
	v_add_f32_e32 v2, v17, v2
	v_fma_f32 v16, v21, s0, -v16
	v_add_f32_e32 v17, v13, v15
	v_sub_f32_e32 v13, v13, v15
	v_add_f32_e32 v4, v16, v4
	v_add_f32_e32 v16, v12, v14
	v_sub_f32_e32 v12, v12, v14
	v_mul_f32_e32 v14, 0xbe903f40, v13
	v_fma_f32 v15, v16, s6, -v14
	v_add_f32_e32 v15, v15, v19
	v_mul_f32_e32 v19, 0xbe903f40, v12
	v_mov_b32_e32 v20, v19
	v_fmac_f32_e32 v43, 0x3f575c64, v21
	v_fmac_f32_e32 v20, 0xbf75a155, v17
	v_add_f32_e32 v43, v43, v94
	v_mov_b32_e32 v94, v56
	v_add_f32_e32 v23, v20, v23
	v_fmac_f32_e32 v14, 0xbf75a155, v16
	v_mul_f32_e32 v20, 0x3f0a6770, v12
	v_fmac_f32_e32 v94, 0xbf75a155, v21
	v_fma_f32 v56, v21, s6, -v56
	v_fmac_f32_e32 v96, 0x3ed4b147, v21
	v_add_f32_e32 v14, v14, v18
	v_fma_f32 v18, v17, s6, -v19
	v_mov_b32_e32 v21, v20
	v_fma_f32 v20, v17, s4, -v20
	v_add_f32_e32 v22, v18, v22
	v_mul_f32_e32 v18, 0x3f0a6770, v13
	v_fmac_f32_e32 v21, 0x3f575c64, v17
	v_add_f32_e32 v26, v20, v26
	v_mul_f32_e32 v20, 0xbf4178ce, v13
	v_fma_f32 v19, v16, s4, -v18
	v_add_f32_e32 v27, v21, v27
	v_fmac_f32_e32 v18, 0x3f575c64, v16
	v_fma_f32 v21, v16, s5, -v20
	v_fmac_f32_e32 v20, 0xbf27a4f4, v16
	v_add_f32_e32 v102, v102, v106
	v_add_f32_e32 v101, v101, v105
	;; [unrolled: 1-line block ×3, first 2 shown]
	v_mul_f32_e32 v24, 0xbf4178ce, v12
	v_add_f32_e32 v20, v20, v28
	v_mul_f32_e32 v28, 0x3f68dda4, v12
	v_add_f32_e32 v103, v103, v107
	v_add_f32_e32 v98, v98, v102
	;; [unrolled: 1-line block ×5, first 2 shown]
	v_mov_b32_e32 v25, v24
	v_fma_f32 v24, v17, s5, -v24
	v_mov_b32_e32 v29, v28
	v_add_f32_e32 v104, v104, v108
	v_add_f32_e32 v99, v99, v103
	;; [unrolled: 1-line block ×4, first 2 shown]
	v_fmac_f32_e32 v25, 0xbf27a4f4, v17
	v_add_f32_e32 v98, v24, v38
	v_mul_f32_e32 v24, 0x3f68dda4, v13
	v_fmac_f32_e32 v29, 0x3ed4b147, v17
	v_fma_f32 v28, v17, s0, -v28
	v_mul_f32_e32 v13, 0xbf7d64f0, v13
	v_mul_f32_e32 v12, 0xbf7d64f0, v12
	v_add_f32_e32 v100, v100, v104
	v_add_f32_e32 v95, v95, v99
	;; [unrolled: 1-line block ×3, first 2 shown]
	v_fma_f32 v25, v16, s0, -v24
	v_add_f32_e32 v94, v29, v94
	v_fmac_f32_e32 v24, 0x3ed4b147, v16
	v_add_f32_e32 v99, v28, v56
	v_fma_f32 v28, v16, s1, -v13
	v_mov_b32_e32 v29, v12
	v_fmac_f32_e32 v13, 0xbe11bafb, v16
	s_waitcnt lgkmcnt(0)
	; wave barrier
	ds_write2_b32 v69, v3, v30 offset1:51
	ds_write2_b32 v69, v32, v34 offset0:102 offset1:153
	ds_write2_b32 v69, v40, v44 offset0:204 offset1:255
	;; [unrolled: 1-line block ×10, first 2 shown]
	v_lshl_add_u32 v7, v11, 2, 0
	v_add_f32_e32 v96, v96, v100
	v_add_f32_e32 v25, v25, v49
	;; [unrolled: 1-line block ×4, first 2 shown]
	v_fmac_f32_e32 v29, 0xbe11bafb, v17
	v_add_f32_e32 v2, v13, v2
	v_fma_f32 v12, v17, s1, -v12
	v_add_u32_e32 v11, 0x1000, v7
	v_add_u32_e32 v13, 0x1400, v7
	;; [unrolled: 1-line block ×3, first 2 shown]
	v_add_f32_e32 v95, v29, v96
	v_add_f32_e32 v12, v12, v4
	ds_write2_b32 v11, v42, v15 offset0:98 offset1:149
	ds_write2_b32 v11, v19, v21 offset0:200 offset1:251
	;; [unrolled: 1-line block ×5, first 2 shown]
	ds_write_b32 v7, v14 offset:6528
	s_waitcnt lgkmcnt(0)
	; wave barrier
	s_waitcnt lgkmcnt(0)
	ds_read2_b32 v[24:25], v69 offset1:51
	ds_read2_b32 v[30:31], v10 offset0:126 offset1:177
	ds_read2_b32 v[28:29], v82 offset0:98 offset1:149
	;; [unrolled: 1-line block ×15, first 2 shown]
	ds_read_b32 v4, v69 offset:6528
	s_waitcnt lgkmcnt(0)
	; wave barrier
	s_waitcnt lgkmcnt(0)
	ds_write2_b32 v69, v5, v6 offset1:51
	ds_write2_b32 v69, v36, v50 offset0:102 offset1:153
	ds_write2_b32 v69, v52, v54 offset0:204 offset1:255
	;; [unrolled: 1-line block ×15, first 2 shown]
	ds_write_b32 v7, v22 offset:6528
	s_waitcnt lgkmcnt(0)
	; wave barrier
	s_waitcnt lgkmcnt(0)
	s_and_saveexec_b64 s[0:1], vcc
	s_cbranch_execz .LBB0_19
; %bb.18:
	v_lshlrev_b32_e32 v50, 1, v62
	v_mov_b32_e32 v51, 0
	v_lshlrev_b64 v[5:6], 3, v[50:51]
	v_mov_b32_e32 v59, s9
	v_add_co_u32_e32 v5, vcc, s8, v5
	v_addc_co_u32_e32 v6, vcc, v59, v6, vcc
	v_lshlrev_b32_e32 v50, 1, v63
	v_add_co_u32_e32 v5, vcc, 0x1000, v5
	v_lshlrev_b64 v[9:10], 3, v[50:51]
	v_addc_co_u32_e32 v6, vcc, 0, v6, vcc
	v_add_co_u32_e32 v9, vcc, s8, v9
	s_movk_i32 s0, 0x1000
	v_addc_co_u32_e32 v10, vcc, v59, v10, vcc
	v_add_co_u32_e32 v9, vcc, s0, v9
	global_load_dwordx4 v[5:8], v[5:6], off offset:256
	v_addc_co_u32_e32 v10, vcc, 0, v10, vcc
	global_load_dwordx4 v[9:12], v[9:10], off offset:256
	v_lshlrev_b32_e32 v50, 1, v71
	v_lshlrev_b64 v[16:17], 3, v[50:51]
	v_lshlrev_b32_e32 v50, 1, v72
	v_add_co_u32_e32 v16, vcc, s8, v16
	v_addc_co_u32_e32 v17, vcc, v59, v17, vcc
	v_add_co_u32_e32 v16, vcc, s0, v16
	v_addc_co_u32_e32 v17, vcc, 0, v17, vcc
	global_load_dwordx4 v[64:67], v[16:17], off offset:256
	v_lshlrev_b64 v[36:37], 3, v[50:51]
	v_add_u32_e32 v13, 0xe00, v69
	v_add_u32_e32 v22, 0x600, v69
	;; [unrolled: 1-line block ×3, first 2 shown]
	ds_read_b32 v54, v69 offset:6528
	v_add_u32_e32 v58, 0x400, v69
	ds_read2_b32 v[16:17], v13 offset0:124 offset1:175
	ds_read2_b32 v[52:53], v22 offset0:126 offset1:177
	;; [unrolled: 1-line block ×4, first 2 shown]
	v_add_co_u32_e32 v13, vcc, s8, v36
	v_addc_co_u32_e32 v37, vcc, v59, v37, vcc
	v_add_co_u32_e32 v36, vcc, s0, v13
	v_addc_co_u32_e32 v37, vcc, 0, v37, vcc
	global_load_dwordx4 v[78:81], v[36:37], off offset:256
	v_lshlrev_b32_e32 v50, 1, v73
	ds_read2_b32 v[60:61], v58 offset0:50 offset1:101
	v_add_u32_e32 v95, 0x800, v69
	ds_read2_b32 v[90:91], v95 offset0:202 offset1:253
	ds_read2_b32 v[93:94], v69 offset0:102 offset1:153
	s_waitcnt vmcnt(3) lgkmcnt(6)
	v_mul_f32_e32 v13, v6, v17
	v_mul_f32_e32 v17, v5, v17
	;; [unrolled: 1-line block ×4, first 2 shown]
	s_waitcnt vmcnt(2)
	v_mul_f32_e32 v55, v9, v16
	v_mul_f32_e32 v16, v10, v16
	v_fmac_f32_e32 v17, v3, v6
	v_fmac_f32_e32 v37, v4, v8
	v_fma_f32 v5, v3, v5, -v13
	v_fma_f32 v13, v4, v7, -v36
	v_fmac_f32_e32 v55, v2, v10
	v_fma_f32 v8, v2, v9, -v16
	v_add_f32_e32 v2, v17, v37
	s_waitcnt lgkmcnt(4)
	v_mul_f32_e32 v54, v11, v23
	v_sub_f32_e32 v9, v5, v13
	v_add_f32_e32 v3, v17, v52
	v_add_f32_e32 v4, v5, v13
	;; [unrolled: 1-line block ×3, first 2 shown]
	v_fma_f32 v5, -0.5, v2, v52
	v_mul_f32_e32 v23, v12, v23
	v_fmac_f32_e32 v54, v15, v12
	v_add_f32_e32 v7, v37, v3
	v_fma_f32 v4, -0.5, v4, v30
	v_mov_b32_e32 v3, v5
	v_fma_f32 v10, v15, v11, -v23
	v_sub_f32_e32 v11, v17, v37
	v_fmac_f32_e32 v5, 0xbf5db3d7, v9
	v_mov_b32_e32 v2, v4
	v_fmac_f32_e32 v3, 0x3f5db3d7, v9
	v_add_f32_e32 v9, v54, v55
	s_waitcnt lgkmcnt(3)
	v_add_f32_e32 v12, v27, v55
	v_add_f32_e32 v15, v19, v8
	v_fmac_f32_e32 v4, 0x3f5db3d7, v11
	v_fmac_f32_e32 v2, 0xbf5db3d7, v11
	v_fma_f32 v11, -0.5, v9, v27
	v_add_f32_e32 v6, v6, v13
	v_add_f32_e32 v13, v54, v12
	;; [unrolled: 1-line block ×3, first 2 shown]
	v_sub_f32_e32 v15, v8, v10
	v_mov_b32_e32 v9, v11
	v_fmac_f32_e32 v9, 0x3f5db3d7, v15
	v_fmac_f32_e32 v11, 0xbf5db3d7, v15
	v_lshlrev_b64 v[15:16], 3, v[50:51]
	v_add_f32_e32 v8, v10, v8
	v_fma_f32 v10, -0.5, v8, v19
	v_add_co_u32_e32 v8, vcc, s8, v15
	v_add_u32_e32 v30, 0xc00, v69
	v_addc_co_u32_e32 v16, vcc, v59, v16, vcc
	v_add_co_u32_e32 v15, vcc, s0, v8
	ds_read2_b32 v[36:37], v30 offset0:150 offset1:201
	v_addc_co_u32_e32 v16, vcc, 0, v16, vcc
	global_load_dwordx4 v[82:85], v[15:16], off offset:256
	v_sub_f32_e32 v15, v55, v54
	v_mov_b32_e32 v8, v10
	v_fmac_f32_e32 v8, 0xbf5db3d7, v15
	v_fmac_f32_e32 v10, 0x3f5db3d7, v15
	s_waitcnt vmcnt(2) lgkmcnt(0)
	v_mul_f32_e32 v15, v65, v37
	v_mul_f32_e32 v37, v64, v37
	v_fma_f32 v23, v21, v64, -v15
	v_mul_f32_e32 v15, v67, v22
	v_fmac_f32_e32 v37, v21, v65
	v_mul_f32_e32 v21, v66, v22
	v_lshlrev_b32_e32 v50, 1, v74
	v_fma_f32 v27, v14, v66, -v15
	v_fmac_f32_e32 v21, v14, v67
	v_lshlrev_b64 v[14:15], 3, v[50:51]
	v_add_u32_e32 v52, 0x1400, v69
	v_add_co_u32_e32 v14, vcc, s8, v14
	v_addc_co_u32_e32 v15, vcc, v59, v15, vcc
	v_add_co_u32_e32 v14, vcc, s0, v14
	v_addc_co_u32_e32 v15, vcc, 0, v15, vcc
	global_load_dwordx4 v[64:67], v[14:15], off offset:256
	v_add_f32_e32 v14, v37, v21
	ds_read2_b32 v[54:55], v52 offset0:148 offset1:199
	v_fma_f32 v17, -0.5, v14, v26
	v_sub_f32_e32 v19, v23, v27
	v_mov_b32_e32 v15, v17
	v_fmac_f32_e32 v15, 0x3f5db3d7, v19
	v_fmac_f32_e32 v17, 0xbf5db3d7, v19
	v_add_f32_e32 v19, v37, v26
	v_sub_f32_e32 v22, v37, v21
	v_add_f32_e32 v19, v21, v19
	s_waitcnt vmcnt(2)
	v_mul_f32_e32 v21, v79, v36
	v_fma_f32 v37, v20, v78, -v21
	s_waitcnt lgkmcnt(0)
	v_mul_f32_e32 v21, v81, v55
	v_mul_f32_e32 v36, v78, v36
	;; [unrolled: 1-line block ×3, first 2 shown]
	v_add_f32_e32 v14, v23, v27
	v_fmac_f32_e32 v36, v20, v79
	v_fmac_f32_e32 v55, v33, v81
	v_fma_f32 v16, -0.5, v14, v18
	v_fma_f32 v88, v33, v80, -v21
	v_add_f32_e32 v20, v36, v55
	v_mov_b32_e32 v14, v16
	v_add_f32_e32 v18, v18, v23
	v_fma_f32 v23, -0.5, v20, v61
	v_add_f32_e32 v20, v37, v88
	v_fmac_f32_e32 v14, 0xbf5db3d7, v22
	v_fmac_f32_e32 v16, 0x3f5db3d7, v22
	v_fma_f32 v22, -0.5, v20, v43
	v_add_f32_e32 v18, v18, v27
	v_sub_f32_e32 v26, v37, v88
	v_mov_b32_e32 v21, v23
	v_sub_f32_e32 v27, v36, v55
	v_mov_b32_e32 v20, v22
	v_lshlrev_b32_e32 v50, 1, v75
	v_fmac_f32_e32 v21, 0x3f5db3d7, v26
	v_fmac_f32_e32 v20, 0xbf5db3d7, v27
	;; [unrolled: 1-line block ×4, first 2 shown]
	v_lshlrev_b64 v[26:27], 3, v[50:51]
	ds_read2_b32 v[86:87], v30 offset0:48 offset1:99
	v_add_co_u32_e32 v26, vcc, s8, v26
	v_addc_co_u32_e32 v27, vcc, v59, v27, vcc
	v_add_co_u32_e32 v26, vcc, s0, v26
	v_addc_co_u32_e32 v27, vcc, 0, v27, vcc
	global_load_dwordx4 v[78:81], v[26:27], off offset:256
	v_add_f32_e32 v26, v36, v61
	v_add_f32_e32 v27, v55, v26
	;; [unrolled: 1-line block ×4, first 2 shown]
	s_waitcnt vmcnt(2) lgkmcnt(0)
	v_mul_f32_e32 v30, v83, v87
	v_mul_f32_e32 v55, v82, v87
	v_fma_f32 v30, v49, v82, -v30
	v_fmac_f32_e32 v55, v49, v83
	v_mul_f32_e32 v49, v84, v54
	v_mul_f32_e32 v33, v85, v54
	v_fmac_f32_e32 v49, v32, v85
	v_fma_f32 v50, v32, v84, -v33
	v_add_f32_e32 v32, v55, v49
	v_fma_f32 v37, -0.5, v32, v60
	v_sub_f32_e32 v43, v30, v50
	v_mov_b32_e32 v33, v37
	v_fmac_f32_e32 v33, 0x3f5db3d7, v43
	v_fmac_f32_e32 v37, 0xbf5db3d7, v43
	v_add_f32_e32 v43, v55, v60
	ds_read2_b32 v[60:61], v52 offset0:46 offset1:97
	v_add_f32_e32 v32, v30, v50
	v_add_f32_e32 v30, v42, v30
	v_fma_f32 v36, -0.5, v32, v42
	v_sub_f32_e32 v54, v55, v49
	v_add_f32_e32 v43, v49, v43
	v_add_f32_e32 v42, v30, v50
	v_lshlrev_b32_e32 v50, 1, v76
	ds_read2_b32 v[87:88], v69 offset0:204 offset1:255
	s_waitcnt vmcnt(1) lgkmcnt(1)
	v_mul_f32_e32 v49, v67, v61
	v_fma_f32 v52, v57, v66, -v49
	v_lshlrev_b64 v[49:50], 3, v[50:51]
	v_mul_f32_e32 v30, v65, v86
	v_add_co_u32_e32 v49, vcc, s8, v49
	v_mul_f32_e32 v86, v64, v86
	v_addc_co_u32_e32 v50, vcc, v59, v50, vcc
	v_mul_f32_e32 v61, v66, v61
	v_add_co_u32_e32 v49, vcc, s0, v49
	v_fmac_f32_e32 v86, v48, v65
	v_fmac_f32_e32 v61, v57, v67
	v_fma_f32 v30, v48, v64, -v30
	v_addc_co_u32_e32 v50, vcc, 0, v50, vcc
	v_add_f32_e32 v48, v86, v61
	v_mov_b32_e32 v32, v36
	global_load_dwordx4 v[82:85], v[49:50], off offset:256
	s_waitcnt lgkmcnt(0)
	v_fma_f32 v55, -0.5, v48, v88
	v_add_f32_e32 v48, v30, v52
	v_fmac_f32_e32 v32, 0xbf5db3d7, v54
	v_fmac_f32_e32 v36, 0x3f5db3d7, v54
	v_fma_f32 v54, -0.5, v48, v47
	v_sub_f32_e32 v50, v86, v61
	v_mov_b32_e32 v48, v54
	v_sub_f32_e32 v58, v30, v52
	v_mov_b32_e32 v49, v55
	v_fmac_f32_e32 v48, 0xbf5db3d7, v50
	v_fmac_f32_e32 v54, 0x3f5db3d7, v50
	v_lshlrev_b32_e32 v50, 1, v77
	v_fmac_f32_e32 v49, 0x3f5db3d7, v58
	v_fmac_f32_e32 v55, 0xbf5db3d7, v58
	v_lshlrev_b64 v[57:58], 3, v[50:51]
	v_add_f32_e32 v30, v47, v30
	v_add_co_u32_e32 v50, vcc, s8, v57
	v_addc_co_u32_e32 v58, vcc, v59, v58, vcc
	v_add_co_u32_e32 v57, vcc, s0, v50
	v_addc_co_u32_e32 v58, vcc, 0, v58, vcc
	global_load_dwordx4 v[64:67], v[57:58], off offset:256
	v_add_f32_e32 v50, v86, v88
	v_add_f32_e32 v58, v61, v50
	;; [unrolled: 1-line block ×3, first 2 shown]
	v_lshlrev_b32_e32 v50, 1, v68
	s_waitcnt vmcnt(2)
	v_mul_f32_e32 v30, v79, v91
	v_mul_f32_e32 v86, v78, v91
	v_fma_f32 v30, v45, v78, -v30
	v_mul_f32_e32 v47, v81, v60
	v_fmac_f32_e32 v86, v45, v79
	v_mul_f32_e32 v45, v80, v60
	v_lshlrev_b64 v[60:61], 3, v[50:51]
	v_fma_f32 v52, v56, v80, -v47
	v_add_co_u32_e32 v50, vcc, s8, v60
	v_fmac_f32_e32 v45, v56, v81
	v_addc_co_u32_e32 v56, vcc, v59, v61, vcc
	v_add_co_u32_e32 v60, vcc, s0, v50
	v_addc_co_u32_e32 v61, vcc, 0, v56, vcc
	v_add_f32_e32 v50, v86, v45
	global_load_dwordx4 v[78:81], v[60:61], off offset:256
	v_fma_f32 v61, -0.5, v50, v87
	v_add_f32_e32 v50, v30, v52
	v_fma_f32 v60, -0.5, v50, v46
	v_sub_f32_e32 v50, v86, v45
	v_mov_b32_e32 v91, v60
	v_fmac_f32_e32 v91, 0xbf5db3d7, v50
	v_fmac_f32_e32 v60, 0x3f5db3d7, v50
	v_lshlrev_b32_e32 v50, 1, v70
	v_sub_f32_e32 v47, v30, v52
	v_mov_b32_e32 v92, v61
	v_lshlrev_b64 v[50:51], 3, v[50:51]
	v_fmac_f32_e32 v92, 0x3f5db3d7, v47
	v_fmac_f32_e32 v61, 0xbf5db3d7, v47
	v_add_f32_e32 v47, v86, v87
	v_add_f32_e32 v47, v45, v47
	v_add_co_u32_e32 v45, vcc, s8, v50
	v_addc_co_u32_e32 v51, vcc, v59, v51, vcc
	v_add_co_u32_e32 v50, vcc, s0, v45
	v_addc_co_u32_e32 v51, vcc, 0, v51, vcc
	global_load_dwordx4 v[86:89], v[50:51], off offset:256
	v_add_u32_e32 v56, 0x1000, v69
	ds_read2_b32 v[50:51], v56 offset0:200 offset1:251
	v_add_f32_e32 v30, v46, v30
	v_add_f32_e32 v46, v30, v52
	v_add_co_u32_e32 v0, vcc, s12, v0
	s_waitcnt vmcnt(3)
	v_mul_f32_e32 v30, v83, v90
	s_waitcnt lgkmcnt(0)
	v_mul_f32_e32 v45, v85, v51
	v_fma_f32 v30, v44, v82, -v30
	v_fma_f32 v59, v41, v84, -v45
	v_mul_f32_e32 v82, v82, v90
	v_mul_f32_e32 v84, v84, v51
	v_fmac_f32_e32 v82, v44, v83
	v_fmac_f32_e32 v84, v41, v85
	v_add_f32_e32 v41, v82, v84
	v_fma_f32 v45, -0.5, v41, v94
	v_add_f32_e32 v41, v30, v59
	v_fma_f32 v44, -0.5, v41, v39
	v_sub_f32_e32 v41, v82, v84
	v_add_f32_e32 v85, v82, v94
	ds_read2_b32 v[82:83], v95 offset0:100 offset1:151
	v_sub_f32_e32 v96, v30, v59
	v_add_f32_e32 v30, v39, v30
	v_add_f32_e32 v85, v84, v85
	;; [unrolled: 1-line block ×3, first 2 shown]
	v_mov_b32_e32 v51, v44
	v_fmac_f32_e32 v51, 0xbf5db3d7, v41
	v_fmac_f32_e32 v44, 0x3f5db3d7, v41
	v_mov_b32_e32 v52, v45
	v_fmac_f32_e32 v52, 0x3f5db3d7, v96
	v_fmac_f32_e32 v45, 0xbf5db3d7, v96
	s_waitcnt vmcnt(2) lgkmcnt(0)
	v_mul_f32_e32 v30, v65, v83
	v_mul_f32_e32 v83, v64, v83
	v_fma_f32 v30, v35, v64, -v30
	v_fmac_f32_e32 v83, v35, v65
	v_mul_f32_e32 v35, v66, v50
	v_mul_f32_e32 v39, v67, v50
	v_fmac_f32_e32 v35, v40, v67
	v_fma_f32 v41, v40, v66, -v39
	v_add_f32_e32 v39, v83, v35
	v_fma_f32 v40, -0.5, v39, v93
	v_add_f32_e32 v39, v30, v41
	v_fma_f32 v39, -0.5, v39, v38
	v_sub_f32_e32 v50, v83, v35
	v_mov_b32_e32 v64, v39
	v_fmac_f32_e32 v64, 0xbf5db3d7, v50
	v_fmac_f32_e32 v39, 0x3f5db3d7, v50
	v_add_f32_e32 v50, v83, v93
	ds_read2_b32 v[93:94], v56 offset0:98 offset1:149
	ds_read2_b32 v[95:96], v69 offset1:51
	v_sub_f32_e32 v59, v30, v41
	v_mov_b32_e32 v65, v40
	v_add_f32_e32 v30, v38, v30
	v_fmac_f32_e32 v65, 0x3f5db3d7, v59
	v_fmac_f32_e32 v40, 0xbf5db3d7, v59
	v_add_f32_e32 v66, v30, v41
	s_waitcnt vmcnt(1)
	v_mul_f32_e32 v30, v79, v82
	v_mul_f32_e32 v56, v78, v82
	s_waitcnt lgkmcnt(1)
	v_mul_f32_e32 v59, v80, v94
	v_fma_f32 v38, v34, v78, -v30
	v_mul_f32_e32 v30, v81, v94
	v_fmac_f32_e32 v56, v34, v79
	v_fmac_f32_e32 v59, v29, v81
	v_fma_f32 v41, v29, v80, -v30
	v_add_f32_e32 v29, v56, v59
	s_waitcnt lgkmcnt(0)
	v_fma_f32 v30, -0.5, v29, v96
	v_add_f32_e32 v67, v35, v50
	v_sub_f32_e32 v50, v38, v41
	v_mov_b32_e32 v35, v30
	v_add_f32_e32 v29, v38, v41
	v_fmac_f32_e32 v35, 0x3f5db3d7, v50
	v_fma_f32 v29, -0.5, v29, v25
	v_fmac_f32_e32 v30, 0xbf5db3d7, v50
	v_add_f32_e32 v50, v56, v96
	v_add_f32_e32 v25, v25, v38
	;; [unrolled: 1-line block ×4, first 2 shown]
	v_sub_f32_e32 v69, v56, v59
	s_waitcnt vmcnt(0)
	v_mul_f32_e32 v25, v87, v53
	v_mul_f32_e32 v50, v86, v53
	v_fma_f32 v38, v31, v86, -v25
	v_fmac_f32_e32 v50, v31, v87
	v_mul_f32_e32 v31, v88, v93
	v_mul_f32_e32 v25, v89, v93
	v_fmac_f32_e32 v31, v28, v89
	v_fma_f32 v41, v28, v88, -v25
	v_add_f32_e32 v28, v50, v31
	v_mad_u64_u32 v[86:87], s[0:1], s2, v70, 0
	v_fma_f32 v81, -0.5, v28, v95
	v_add_f32_e32 v28, v38, v41
	v_fma_f32 v80, -0.5, v28, v24
	v_sub_f32_e32 v25, v38, v41
	v_mov_b32_e32 v83, v81
	v_sub_f32_e32 v28, v50, v31
	v_mov_b32_e32 v82, v80
	v_fmac_f32_e32 v83, 0x3f5db3d7, v25
	v_fmac_f32_e32 v82, 0xbf5db3d7, v28
	;; [unrolled: 1-line block ×4, first 2 shown]
	v_add_f32_e32 v28, v50, v95
	v_mov_b32_e32 v25, v87
	v_mad_u64_u32 v[87:88], s[0:1], s3, v70, v[25:26]
	v_add_f32_e32 v25, v31, v28
	v_add_u32_e32 v31, 0x231, v70
	v_mad_u64_u32 v[88:89], s[0:1], s2, v31, 0
	v_mov_b32_e32 v28, s13
	v_mov_b32_e32 v34, v29
	v_fmac_f32_e32 v29, 0x3f5db3d7, v69
	v_addc_co_u32_e32 v1, vcc, v28, v1, vcc
	v_mov_b32_e32 v28, v89
	v_lshlrev_b64 v[86:87], 3, v[86:87]
	v_mad_u64_u32 v[89:90], s[0:1], s3, v31, v[28:29]
	v_add_f32_e32 v24, v24, v38
	v_add_co_u32_e32 v86, vcc, v0, v86
	v_add_f32_e32 v24, v24, v41
	v_addc_co_u32_e32 v87, vcc, v1, v87, vcc
	global_store_dwordx2 v[86:87], v[24:25], off
	v_lshlrev_b64 v[24:25], 3, v[88:89]
	v_add_u32_e32 v28, 0x462, v70
	v_add_co_u32_e32 v24, vcc, v0, v24
	v_mad_u64_u32 v[86:87], s[0:1], s2, v28, 0
	v_addc_co_u32_e32 v25, vcc, v1, v25, vcc
	global_store_dwordx2 v[24:25], v[80:81], off
	v_mad_u64_u32 v[80:81], s[0:1], s2, v68, 0
	v_mov_b32_e32 v24, v87
	v_mad_u64_u32 v[24:25], s[0:1], s3, v28, v[24:25]
	v_mov_b32_e32 v28, v81
	v_fmac_f32_e32 v34, 0xbf5db3d7, v69
	v_mad_u64_u32 v[68:69], s[4:5], s3, v68, v[28:29]
	v_add_u32_e32 v31, 0x264, v70
	v_mov_b32_e32 v87, v24
	v_mov_b32_e32 v81, v68
	v_mad_u64_u32 v[68:69], s[4:5], s2, v31, 0
	v_lshlrev_b64 v[24:25], 3, v[86:87]
	v_add_u32_e32 v38, 0x297, v70
	v_add_co_u32_e32 v24, vcc, v0, v24
	v_addc_co_u32_e32 v25, vcc, v1, v25, vcc
	v_mov_b32_e32 v28, v69
	global_store_dwordx2 v[24:25], v[82:83], off
	v_lshlrev_b64 v[24:25], 3, v[80:81]
	v_mad_u64_u32 v[80:81], s[4:5], s3, v31, v[28:29]
	v_add_co_u32_e32 v24, vcc, v0, v24
	v_add_u32_e32 v31, 0x495, v70
	v_addc_co_u32_e32 v25, vcc, v1, v25, vcc
	v_mad_u64_u32 v[81:82], s[4:5], s2, v31, 0
	v_mov_b32_e32 v69, v80
	global_store_dwordx2 v[24:25], v[78:79], off
	v_lshlrev_b64 v[24:25], 3, v[68:69]
	v_mov_b32_e32 v28, v82
	v_add_co_u32_e32 v24, vcc, v0, v24
	v_addc_co_u32_e32 v25, vcc, v1, v25, vcc
	v_mad_u64_u32 v[68:69], s[4:5], s3, v31, v[28:29]
	global_store_dwordx2 v[24:25], v[29:30], off
	v_mad_u64_u32 v[28:29], s[4:5], s2, v77, 0
	v_mov_b32_e32 v82, v68
	v_lshlrev_b64 v[24:25], 3, v[81:82]
	v_mad_u64_u32 v[29:30], s[4:5], s3, v77, v[29:30]
	v_mad_u64_u32 v[30:31], s[4:5], s2, v38, 0
	v_add_co_u32_e32 v24, vcc, v0, v24
	v_addc_co_u32_e32 v25, vcc, v1, v25, vcc
	global_store_dwordx2 v[24:25], v[34:35], off
	v_lshlrev_b64 v[24:25], 3, v[28:29]
	v_mov_b32_e32 v28, v31
	v_mad_u64_u32 v[28:29], s[4:5], s3, v38, v[28:29]
	v_add_co_u32_e32 v24, vcc, v0, v24
	v_addc_co_u32_e32 v25, vcc, v1, v25, vcc
	v_mov_b32_e32 v31, v28
	global_store_dwordx2 v[24:25], v[66:67], off
	v_lshlrev_b64 v[24:25], 3, v[30:31]
	v_add_u32_e32 v30, 0x4c8, v70
	v_mad_u64_u32 v[28:29], s[4:5], s2, v30, 0
	v_add_co_u32_e32 v24, vcc, v0, v24
	v_mad_u64_u32 v[29:30], s[4:5], s3, v30, v[29:30]
	v_mad_u64_u32 v[30:31], s[4:5], s2, v76, 0
	v_addc_co_u32_e32 v25, vcc, v1, v25, vcc
	global_store_dwordx2 v[24:25], v[39:40], off
	v_lshlrev_b64 v[24:25], 3, v[28:29]
	v_mov_b32_e32 v28, v31
	v_mad_u64_u32 v[28:29], s[4:5], s3, v76, v[28:29]
	v_add_co_u32_e32 v24, vcc, v0, v24
	v_addc_co_u32_e32 v25, vcc, v1, v25, vcc
	v_mov_b32_e32 v31, v28
	global_store_dwordx2 v[24:25], v[64:65], off
	v_lshlrev_b64 v[24:25], 3, v[30:31]
	v_add_u32_e32 v30, 0x2ca, v70
	v_mad_u64_u32 v[28:29], s[4:5], s2, v30, 0
	v_add_u32_e32 v34, 0x4fb, v70
	v_add_co_u32_e32 v24, vcc, v0, v24
	v_mad_u64_u32 v[29:30], s[4:5], s3, v30, v[29:30]
	v_mad_u64_u32 v[30:31], s[4:5], s2, v34, 0
	v_addc_co_u32_e32 v25, vcc, v1, v25, vcc
	global_store_dwordx2 v[24:25], v[84:85], off
	v_lshlrev_b64 v[24:25], 3, v[28:29]
	v_mov_b32_e32 v28, v31
	v_mad_u64_u32 v[28:29], s[4:5], s3, v34, v[28:29]
	v_add_co_u32_e32 v24, vcc, v0, v24
	v_mov_b32_e32 v31, v28
	v_mad_u64_u32 v[28:29], s[4:5], s2, v75, 0
	v_addc_co_u32_e32 v25, vcc, v1, v25, vcc
	global_store_dwordx2 v[24:25], v[44:45], off
	v_lshlrev_b64 v[24:25], 3, v[30:31]
	v_mad_u64_u32 v[29:30], s[4:5], s3, v75, v[29:30]
	v_add_u32_e32 v34, 0x2fd, v70
	v_mad_u64_u32 v[30:31], s[4:5], s2, v34, 0
	v_add_co_u32_e32 v24, vcc, v0, v24
	v_addc_co_u32_e32 v25, vcc, v1, v25, vcc
	global_store_dwordx2 v[24:25], v[51:52], off
	v_lshlrev_b64 v[24:25], 3, v[28:29]
	v_mov_b32_e32 v28, v31
	v_mad_u64_u32 v[28:29], s[4:5], s3, v34, v[28:29]
	v_add_co_u32_e32 v24, vcc, v0, v24
	v_addc_co_u32_e32 v25, vcc, v1, v25, vcc
	v_mov_b32_e32 v31, v28
	global_store_dwordx2 v[24:25], v[46:47], off
	v_lshlrev_b64 v[24:25], 3, v[30:31]
	v_add_u32_e32 v30, 0x52e, v70
	v_mad_u64_u32 v[28:29], s[4:5], s2, v30, 0
	v_add_co_u32_e32 v24, vcc, v0, v24
	v_mad_u64_u32 v[29:30], s[4:5], s3, v30, v[29:30]
	v_mad_u64_u32 v[30:31], s[4:5], s2, v74, 0
	v_addc_co_u32_e32 v25, vcc, v1, v25, vcc
	global_store_dwordx2 v[24:25], v[60:61], off
	v_lshlrev_b64 v[24:25], 3, v[28:29]
	v_mov_b32_e32 v28, v31
	v_mad_u64_u32 v[28:29], s[4:5], s3, v74, v[28:29]
	v_add_co_u32_e32 v24, vcc, v0, v24
	v_addc_co_u32_e32 v25, vcc, v1, v25, vcc
	v_mov_b32_e32 v31, v28
	global_store_dwordx2 v[24:25], v[91:92], off
	v_lshlrev_b64 v[24:25], 3, v[30:31]
	v_add_u32_e32 v30, 0x330, v70
	v_mad_u64_u32 v[28:29], s[4:5], s2, v30, 0
	v_add_u32_e32 v34, 0x561, v70
	v_add_co_u32_e32 v24, vcc, v0, v24
	v_mad_u64_u32 v[29:30], s[4:5], s3, v30, v[29:30]
	v_mad_u64_u32 v[30:31], s[4:5], s2, v34, 0
	v_addc_co_u32_e32 v25, vcc, v1, v25, vcc
	global_store_dwordx2 v[24:25], v[57:58], off
	v_lshlrev_b64 v[24:25], 3, v[28:29]
	v_mov_b32_e32 v28, v31
	v_mad_u64_u32 v[28:29], s[4:5], s3, v34, v[28:29]
	v_add_co_u32_e32 v24, vcc, v0, v24
	v_mov_b32_e32 v31, v28
	v_mad_u64_u32 v[28:29], s[4:5], s2, v73, 0
	v_addc_co_u32_e32 v25, vcc, v1, v25, vcc
	global_store_dwordx2 v[24:25], v[54:55], off
	v_lshlrev_b64 v[24:25], 3, v[30:31]
	v_mad_u64_u32 v[29:30], s[4:5], s3, v73, v[29:30]
	v_add_u32_e32 v34, 0x363, v70
	v_mad_u64_u32 v[30:31], s[4:5], s2, v34, 0
	v_add_co_u32_e32 v24, vcc, v0, v24
	v_addc_co_u32_e32 v25, vcc, v1, v25, vcc
	global_store_dwordx2 v[24:25], v[48:49], off
	v_lshlrev_b64 v[24:25], 3, v[28:29]
	v_mov_b32_e32 v28, v31
	v_mad_u64_u32 v[28:29], s[4:5], s3, v34, v[28:29]
	v_add_co_u32_e32 v24, vcc, v0, v24
	v_addc_co_u32_e32 v25, vcc, v1, v25, vcc
	v_mov_b32_e32 v31, v28
	global_store_dwordx2 v[24:25], v[42:43], off
	v_lshlrev_b64 v[24:25], 3, v[30:31]
	v_add_u32_e32 v30, 0x594, v70
	v_mad_u64_u32 v[28:29], s[4:5], s2, v30, 0
	v_add_co_u32_e32 v24, vcc, v0, v24
	v_mad_u64_u32 v[29:30], s[4:5], s3, v30, v[29:30]
	v_mad_u64_u32 v[30:31], s[4:5], s2, v72, 0
	v_addc_co_u32_e32 v25, vcc, v1, v25, vcc
	global_store_dwordx2 v[24:25], v[36:37], off
	v_lshlrev_b64 v[24:25], 3, v[28:29]
	v_mov_b32_e32 v28, v31
	v_mad_u64_u32 v[28:29], s[4:5], s3, v72, v[28:29]
	v_add_co_u32_e32 v24, vcc, v0, v24
	v_addc_co_u32_e32 v25, vcc, v1, v25, vcc
	v_mov_b32_e32 v31, v28
	global_store_dwordx2 v[24:25], v[32:33], off
	v_lshlrev_b64 v[24:25], 3, v[30:31]
	v_add_u32_e32 v30, 0x396, v70
	v_mad_u64_u32 v[28:29], s[4:5], s2, v30, 0
	v_add_co_u32_e32 v24, vcc, v0, v24
	v_mad_u64_u32 v[29:30], s[4:5], s3, v30, v[29:30]
	v_add_u32_e32 v32, 0x5c7, v70
	v_addc_co_u32_e32 v25, vcc, v1, v25, vcc
	v_mad_u64_u32 v[30:31], s[4:5], s2, v32, 0
	global_store_dwordx2 v[24:25], v[26:27], off
	v_lshlrev_b64 v[24:25], 3, v[28:29]
	v_mov_b32_e32 v26, v31
	v_add_co_u32_e32 v24, vcc, v0, v24
	v_addc_co_u32_e32 v25, vcc, v1, v25, vcc
	v_mad_u64_u32 v[26:27], s[4:5], s3, v32, v[26:27]
	global_store_dwordx2 v[24:25], v[22:23], off
	v_mad_u64_u32 v[24:25], s[4:5], s2, v71, 0
	v_mov_b32_e32 v31, v26
	v_add_u32_e32 v28, 0x3c9, v70
	v_mad_u64_u32 v[25:26], s[4:5], s3, v71, v[25:26]
	v_lshlrev_b64 v[22:23], 3, v[30:31]
	v_mad_u64_u32 v[26:27], s[4:5], s2, v28, 0
	v_add_co_u32_e32 v22, vcc, v0, v22
	v_addc_co_u32_e32 v23, vcc, v1, v23, vcc
	global_store_dwordx2 v[22:23], v[20:21], off
	v_mov_b32_e32 v22, v27
	v_mad_u64_u32 v[22:23], s[4:5], s3, v28, v[22:23]
	v_lshlrev_b64 v[20:21], 3, v[24:25]
	s_mov_b32 s1, 0xd347a4bd
	v_add_co_u32_e32 v20, vcc, v0, v20
	v_addc_co_u32_e32 v21, vcc, v1, v21, vcc
	v_mov_b32_e32 v27, v22
	v_add_u32_e32 v22, 0x5fa, v70
	global_store_dwordx2 v[20:21], v[18:19], off
	v_mad_u64_u32 v[20:21], s[4:5], s2, v22, 0
	v_lshlrev_b64 v[18:19], 3, v[26:27]
	s_movk_i32 s0, 0x462
	v_mad_u64_u32 v[21:22], s[4:5], s3, v22, v[21:22]
	v_mul_hi_u32 v22, v63, s1
	v_add_co_u32_e32 v18, vcc, v0, v18
	v_addc_co_u32_e32 v19, vcc, v1, v19, vcc
	global_store_dwordx2 v[18:19], v[16:17], off
	v_sub_u32_e32 v18, v63, v22
	v_lshrrev_b32_e32 v18, 1, v18
	v_add_u32_e32 v18, v18, v22
	v_lshrrev_b32_e32 v18, 9, v18
	v_mad_u32_u24 v22, v18, s0, v63
	v_mad_u64_u32 v[18:19], s[4:5], s2, v22, 0
	v_lshlrev_b64 v[16:17], 3, v[20:21]
	v_add_u32_e32 v23, 0x231, v22
	v_mad_u64_u32 v[19:20], s[4:5], s3, v22, v[19:20]
	v_mad_u64_u32 v[20:21], s[4:5], s2, v23, 0
	v_add_co_u32_e32 v16, vcc, v0, v16
	v_addc_co_u32_e32 v17, vcc, v1, v17, vcc
	global_store_dwordx2 v[16:17], v[14:15], off
	v_mov_b32_e32 v16, v21
	v_mad_u64_u32 v[16:17], s[4:5], s3, v23, v[16:17]
	v_lshlrev_b64 v[14:15], 3, v[18:19]
	v_mul_hi_u32 v17, v62, s1
	v_add_co_u32_e32 v14, vcc, v0, v14
	v_addc_co_u32_e32 v15, vcc, v1, v15, vcc
	v_mov_b32_e32 v21, v16
	v_add_u32_e32 v16, 0x462, v22
	global_store_dwordx2 v[14:15], v[12:13], off
	v_mad_u64_u32 v[14:15], s[4:5], s2, v16, 0
	v_lshlrev_b64 v[12:13], 3, v[20:21]
	v_mad_u64_u32 v[15:16], s[4:5], s3, v16, v[15:16]
	v_sub_u32_e32 v16, v62, v17
	v_lshrrev_b32_e32 v16, 1, v16
	v_add_u32_e32 v16, v16, v17
	v_lshrrev_b32_e32 v16, 9, v16
	v_mad_u32_u24 v18, v16, s0, v62
	v_mad_u64_u32 v[16:17], s[0:1], s2, v18, 0
	v_add_co_u32_e32 v12, vcc, v0, v12
	v_addc_co_u32_e32 v13, vcc, v1, v13, vcc
	global_store_dwordx2 v[12:13], v[10:11], off
	v_mov_b32_e32 v12, v17
	v_mad_u64_u32 v[12:13], s[0:1], s3, v18, v[12:13]
	v_lshlrev_b64 v[10:11], 3, v[14:15]
	v_add_u32_e32 v14, 0x462, v18
	v_add_co_u32_e32 v10, vcc, v0, v10
	v_addc_co_u32_e32 v11, vcc, v1, v11, vcc
	v_mov_b32_e32 v17, v12
	v_add_u32_e32 v12, 0x231, v18
	global_store_dwordx2 v[10:11], v[8:9], off
	v_mad_u64_u32 v[10:11], s[0:1], s2, v12, 0
	v_lshlrev_b64 v[8:9], 3, v[16:17]
	v_mad_u64_u32 v[11:12], s[0:1], s3, v12, v[11:12]
	v_mad_u64_u32 v[12:13], s[0:1], s2, v14, 0
	v_add_co_u32_e32 v8, vcc, v0, v8
	v_addc_co_u32_e32 v9, vcc, v1, v9, vcc
	global_store_dwordx2 v[8:9], v[6:7], off
	v_mov_b32_e32 v8, v13
	v_mad_u64_u32 v[8:9], s[0:1], s3, v14, v[8:9]
	v_lshlrev_b64 v[6:7], 3, v[10:11]
	v_add_co_u32_e32 v6, vcc, v0, v6
	v_addc_co_u32_e32 v7, vcc, v1, v7, vcc
	v_mov_b32_e32 v13, v8
	global_store_dwordx2 v[6:7], v[4:5], off
	v_lshlrev_b64 v[4:5], 3, v[12:13]
	v_add_co_u32_e32 v0, vcc, v0, v4
	v_addc_co_u32_e32 v1, vcc, v1, v5, vcc
	global_store_dwordx2 v[0:1], v[2:3], off
.LBB0_19:
	s_endpgm
	.section	.rodata,"a",@progbits
	.p2align	6, 0x0
	.amdhsa_kernel fft_rtc_fwd_len1683_factors_17_3_11_3_wgs_51_tpt_51_halfLds_sp_ip_CI_sbrr_dirReg
		.amdhsa_group_segment_fixed_size 0
		.amdhsa_private_segment_fixed_size 0
		.amdhsa_kernarg_size 88
		.amdhsa_user_sgpr_count 6
		.amdhsa_user_sgpr_private_segment_buffer 1
		.amdhsa_user_sgpr_dispatch_ptr 0
		.amdhsa_user_sgpr_queue_ptr 0
		.amdhsa_user_sgpr_kernarg_segment_ptr 1
		.amdhsa_user_sgpr_dispatch_id 0
		.amdhsa_user_sgpr_flat_scratch_init 0
		.amdhsa_user_sgpr_private_segment_size 0
		.amdhsa_uses_dynamic_stack 0
		.amdhsa_system_sgpr_private_segment_wavefront_offset 0
		.amdhsa_system_sgpr_workgroup_id_x 1
		.amdhsa_system_sgpr_workgroup_id_y 0
		.amdhsa_system_sgpr_workgroup_id_z 0
		.amdhsa_system_sgpr_workgroup_info 0
		.amdhsa_system_vgpr_workitem_id 0
		.amdhsa_next_free_vgpr 140
		.amdhsa_next_free_sgpr 24
		.amdhsa_reserve_vcc 1
		.amdhsa_reserve_flat_scratch 0
		.amdhsa_float_round_mode_32 0
		.amdhsa_float_round_mode_16_64 0
		.amdhsa_float_denorm_mode_32 3
		.amdhsa_float_denorm_mode_16_64 3
		.amdhsa_dx10_clamp 1
		.amdhsa_ieee_mode 1
		.amdhsa_fp16_overflow 0
		.amdhsa_exception_fp_ieee_invalid_op 0
		.amdhsa_exception_fp_denorm_src 0
		.amdhsa_exception_fp_ieee_div_zero 0
		.amdhsa_exception_fp_ieee_overflow 0
		.amdhsa_exception_fp_ieee_underflow 0
		.amdhsa_exception_fp_ieee_inexact 0
		.amdhsa_exception_int_div_zero 0
	.end_amdhsa_kernel
	.text
.Lfunc_end0:
	.size	fft_rtc_fwd_len1683_factors_17_3_11_3_wgs_51_tpt_51_halfLds_sp_ip_CI_sbrr_dirReg, .Lfunc_end0-fft_rtc_fwd_len1683_factors_17_3_11_3_wgs_51_tpt_51_halfLds_sp_ip_CI_sbrr_dirReg
                                        ; -- End function
	.section	.AMDGPU.csdata,"",@progbits
; Kernel info:
; codeLenInByte = 27188
; NumSgprs: 28
; NumVgprs: 140
; ScratchSize: 0
; MemoryBound: 0
; FloatMode: 240
; IeeeMode: 1
; LDSByteSize: 0 bytes/workgroup (compile time only)
; SGPRBlocks: 3
; VGPRBlocks: 34
; NumSGPRsForWavesPerEU: 28
; NumVGPRsForWavesPerEU: 140
; Occupancy: 1
; WaveLimiterHint : 1
; COMPUTE_PGM_RSRC2:SCRATCH_EN: 0
; COMPUTE_PGM_RSRC2:USER_SGPR: 6
; COMPUTE_PGM_RSRC2:TRAP_HANDLER: 0
; COMPUTE_PGM_RSRC2:TGID_X_EN: 1
; COMPUTE_PGM_RSRC2:TGID_Y_EN: 0
; COMPUTE_PGM_RSRC2:TGID_Z_EN: 0
; COMPUTE_PGM_RSRC2:TIDIG_COMP_CNT: 0
	.type	__hip_cuid_9b8990b1c03180b3,@object ; @__hip_cuid_9b8990b1c03180b3
	.section	.bss,"aw",@nobits
	.globl	__hip_cuid_9b8990b1c03180b3
__hip_cuid_9b8990b1c03180b3:
	.byte	0                               ; 0x0
	.size	__hip_cuid_9b8990b1c03180b3, 1

	.ident	"AMD clang version 19.0.0git (https://github.com/RadeonOpenCompute/llvm-project roc-6.4.0 25133 c7fe45cf4b819c5991fe208aaa96edf142730f1d)"
	.section	".note.GNU-stack","",@progbits
	.addrsig
	.addrsig_sym __hip_cuid_9b8990b1c03180b3
	.amdgpu_metadata
---
amdhsa.kernels:
  - .args:
      - .actual_access:  read_only
        .address_space:  global
        .offset:         0
        .size:           8
        .value_kind:     global_buffer
      - .offset:         8
        .size:           8
        .value_kind:     by_value
      - .actual_access:  read_only
        .address_space:  global
        .offset:         16
        .size:           8
        .value_kind:     global_buffer
      - .actual_access:  read_only
        .address_space:  global
        .offset:         24
        .size:           8
        .value_kind:     global_buffer
      - .offset:         32
        .size:           8
        .value_kind:     by_value
      - .actual_access:  read_only
        .address_space:  global
        .offset:         40
        .size:           8
        .value_kind:     global_buffer
      - .actual_access:  read_only
        .address_space:  global
        .offset:         48
        .size:           8
        .value_kind:     global_buffer
      - .offset:         56
        .size:           4
        .value_kind:     by_value
      - .actual_access:  read_only
        .address_space:  global
        .offset:         64
        .size:           8
        .value_kind:     global_buffer
      - .actual_access:  read_only
        .address_space:  global
        .offset:         72
        .size:           8
        .value_kind:     global_buffer
      - .address_space:  global
        .offset:         80
        .size:           8
        .value_kind:     global_buffer
    .group_segment_fixed_size: 0
    .kernarg_segment_align: 8
    .kernarg_segment_size: 88
    .language:       OpenCL C
    .language_version:
      - 2
      - 0
    .max_flat_workgroup_size: 51
    .name:           fft_rtc_fwd_len1683_factors_17_3_11_3_wgs_51_tpt_51_halfLds_sp_ip_CI_sbrr_dirReg
    .private_segment_fixed_size: 0
    .sgpr_count:     28
    .sgpr_spill_count: 0
    .symbol:         fft_rtc_fwd_len1683_factors_17_3_11_3_wgs_51_tpt_51_halfLds_sp_ip_CI_sbrr_dirReg.kd
    .uniform_work_group_size: 1
    .uses_dynamic_stack: false
    .vgpr_count:     140
    .vgpr_spill_count: 0
    .wavefront_size: 64
amdhsa.target:   amdgcn-amd-amdhsa--gfx906
amdhsa.version:
  - 1
  - 2
...

	.end_amdgpu_metadata
